;; amdgpu-corpus repo=ROCm/rocFFT kind=compiled arch=gfx1030 opt=O3
	.text
	.amdgcn_target "amdgcn-amd-amdhsa--gfx1030"
	.amdhsa_code_object_version 6
	.protected	bluestein_single_back_len630_dim1_dp_op_CI_CI ; -- Begin function bluestein_single_back_len630_dim1_dp_op_CI_CI
	.globl	bluestein_single_back_len630_dim1_dp_op_CI_CI
	.p2align	8
	.type	bluestein_single_back_len630_dim1_dp_op_CI_CI,@function
bluestein_single_back_len630_dim1_dp_op_CI_CI: ; @bluestein_single_back_len630_dim1_dp_op_CI_CI
; %bb.0:
	s_load_dwordx4 s[8:11], s[4:5], 0x28
	v_mul_u32_u24_e32 v1, 0x411, v0
	s_mov_b64 s[38:39], s[2:3]
	s_mov_b64 s[36:37], s[0:1]
	v_mov_b32_e32 v231, 0
	s_add_u32 s36, s36, s7
	v_lshrrev_b32_e32 v1, 16, v1
	s_addc_u32 s37, s37, 0
	s_mov_b32 s0, exec_lo
	v_add_nc_u32_e32 v230, s6, v1
	s_waitcnt lgkmcnt(0)
	v_cmpx_gt_u64_e64 s[8:9], v[230:231]
	s_cbranch_execz .LBB0_31
; %bb.1:
	s_clause 0x1
	s_load_dwordx4 s[0:3], s[4:5], 0x18
	s_load_dwordx2 s[6:7], s[4:5], 0x0
	v_mul_lo_u16 v1, v1, 63
	v_sub_nc_u16 v110, v0, v1
	v_and_b32_e32 v232, 0xffff, v110
	v_lshlrev_b32_e32 v231, 4, v232
	s_waitcnt lgkmcnt(0)
	s_load_dwordx4 s[12:15], s[0:1], 0x0
	s_clause 0x2
	global_load_dwordx4 v[0:3], v231, s[6:7]
	global_load_dwordx4 v[4:7], v231, s[6:7] offset:1008
	global_load_dwordx4 v[8:11], v231, s[6:7] offset:2016
	v_add_co_u32 v220, s0, s6, v231
	v_add_co_ci_u32_e64 v221, null, s7, 0, s0
	v_add_co_u32 v228, vcc_lo, 0x800, v220
	v_add_co_ci_u32_e32 v229, vcc_lo, 0, v221, vcc_lo
	v_add_co_u32 v254, vcc_lo, 0x1800, v220
	v_add_co_ci_u32_e32 v255, vcc_lo, 0, v221, vcc_lo
	;; [unrolled: 2-line block ×3, first 2 shown]
	s_waitcnt lgkmcnt(0)
	v_mad_u64_u32 v[24:25], null, s14, v230, 0
	v_mad_u64_u32 v[26:27], null, s12, v232, 0
	v_add_co_u32 v233, vcc_lo, 0x2000, v220
	v_add_co_ci_u32_e32 v234, vcc_lo, 0, v221, vcc_lo
	v_mov_b32_e32 v12, v25
	s_mul_i32 s1, s13, 0xd2
	v_mov_b32_e32 v13, v27
	s_mul_hi_u32 s7, s12, 0xd2
	s_mul_i32 s0, s12, 0xd2
	s_mul_hi_u32 s9, s12, 0xfffffe9b
	s_add_i32 s1, s7, s1
	v_mad_u64_u32 v[30:31], null, s15, v230, v[12:13]
	v_mad_u64_u32 v[31:32], null, s13, v232, v[13:14]
	s_mul_i32 s8, s13, 0xfffffe9b
	s_mul_i32 s6, s12, 0xfffffe9b
	s_sub_i32 s7, s9, s12
	s_lshl_b64 s[12:13], s[0:1], 4
	v_mov_b32_e32 v25, v30
	s_add_i32 s7, s7, s8
	v_mov_b32_e32 v27, v31
	s_lshl_b64 s[0:1], s[6:7], 4
	s_clause 0x2
	global_load_dwordx4 v[20:23], v[228:229], off offset:1312
	global_load_dwordx4 v[16:19], v[254:255], off offset:576
	;; [unrolled: 1-line block ×3, first 2 shown]
	v_lshlrev_b64 v[24:25], 4, v[24:25]
	v_lshlrev_b64 v[26:27], 4, v[26:27]
	v_add_co_u32 v24, vcc_lo, s10, v24
	v_add_co_ci_u32_e32 v25, vcc_lo, s11, v25, vcc_lo
	v_add_co_u32 v30, vcc_lo, v24, v26
	v_add_co_ci_u32_e32 v31, vcc_lo, v25, v27, vcc_lo
	global_load_dwordx4 v[24:27], v[254:255], off offset:1584
	v_add_co_u32 v32, vcc_lo, v30, s12
	v_add_co_ci_u32_e32 v33, vcc_lo, s13, v31, vcc_lo
	s_clause 0x1
	global_load_dwordx4 v[38:41], v[30:31], off
	global_load_dwordx4 v[42:45], v[32:33], off
	v_add_co_u32 v34, vcc_lo, v32, s12
	v_add_co_ci_u32_e32 v35, vcc_lo, s13, v33, vcc_lo
	v_add_co_u32 v36, vcc_lo, v34, s0
	v_add_co_ci_u32_e32 v37, vcc_lo, s1, v35, vcc_lo
	s_clause 0x1
	global_load_dwordx4 v[46:49], v[34:35], off
	global_load_dwordx4 v[50:53], v[36:37], off
	v_add_co_u32 v54, vcc_lo, v36, s12
	v_add_co_ci_u32_e32 v55, vcc_lo, s13, v37, vcc_lo
	v_add_co_u32 v30, vcc_lo, v54, s12
	v_add_co_ci_u32_e32 v31, vcc_lo, s13, v55, vcc_lo
	global_load_dwordx4 v[54:57], v[54:55], off
	v_add_co_u32 v32, vcc_lo, v30, s0
	v_add_co_ci_u32_e32 v33, vcc_lo, s1, v31, vcc_lo
	global_load_dwordx4 v[58:61], v[30:31], off
	v_add_co_u32 v34, vcc_lo, v32, s12
	v_add_co_ci_u32_e32 v35, vcc_lo, s13, v33, vcc_lo
	v_add_co_u32 v36, vcc_lo, v34, s12
	v_add_co_ci_u32_e32 v37, vcc_lo, s13, v35, vcc_lo
	global_load_dwordx4 v[62:65], v[32:33], off
	global_load_dwordx4 v[28:31], v[28:29], off offset:1280
	global_load_dwordx4 v[66:69], v[34:35], off
	global_load_dwordx4 v[32:35], v[233:234], off offset:544
	global_load_dwordx4 v[70:73], v[36:37], off
	s_load_dwordx2 s[6:7], s[4:5], 0x38
	s_load_dwordx4 s[8:11], s[2:3], 0x0
	v_cmp_gt_u16_e32 vcc_lo, 21, v110
	s_waitcnt vmcnt(10)
	v_mul_f64 v[74:75], v[40:41], v[2:3]
	v_mul_f64 v[76:77], v[38:39], v[2:3]
	s_waitcnt vmcnt(9)
	v_mul_f64 v[78:79], v[44:45], v[22:23]
	v_mul_f64 v[80:81], v[42:43], v[22:23]
	;; [unrolled: 3-line block ×4, first 2 shown]
	v_fma_f64 v[38:39], v[38:39], v[0:1], v[74:75]
	s_waitcnt vmcnt(6)
	v_mul_f64 v[90:91], v[56:57], v[14:15]
	v_mul_f64 v[92:93], v[54:55], v[14:15]
	v_fma_f64 v[40:41], v[40:41], v[0:1], -v[76:77]
	v_fma_f64 v[42:43], v[42:43], v[20:21], v[78:79]
	v_fma_f64 v[44:45], v[44:45], v[20:21], -v[80:81]
	s_waitcnt vmcnt(5)
	v_mul_f64 v[94:95], v[60:61], v[26:27]
	v_mul_f64 v[96:97], v[58:59], v[26:27]
	s_waitcnt vmcnt(4)
	v_mul_f64 v[98:99], v[64:65], v[10:11]
	v_mul_f64 v[100:101], v[62:63], v[10:11]
	;; [unrolled: 3-line block ×4, first 2 shown]
	v_fma_f64 v[46:47], v[46:47], v[16:17], v[82:83]
	v_fma_f64 v[48:49], v[48:49], v[16:17], -v[84:85]
	v_fma_f64 v[50:51], v[50:51], v[4:5], v[86:87]
	v_fma_f64 v[52:53], v[52:53], v[4:5], -v[88:89]
	;; [unrolled: 2-line block ×3, first 2 shown]
	ds_write_b128 v231, v[38:41]
	ds_write_b128 v231, v[42:45] offset:3360
	ds_write_b128 v231, v[46:49] offset:6720
	;; [unrolled: 1-line block ×4, first 2 shown]
	v_fma_f64 v[58:59], v[58:59], v[24:25], v[94:95]
	v_fma_f64 v[60:61], v[60:61], v[24:25], -v[96:97]
	v_fma_f64 v[62:63], v[62:63], v[8:9], v[98:99]
	v_fma_f64 v[64:65], v[64:65], v[8:9], -v[100:101]
	;; [unrolled: 2-line block ×4, first 2 shown]
	ds_write_b128 v231, v[58:61] offset:7728
	ds_write_b128 v231, v[62:65] offset:2016
	;; [unrolled: 1-line block ×4, first 2 shown]
	s_and_saveexec_b32 s2, vcc_lo
	s_cbranch_execz .LBB0_3
; %bb.2:
	v_add_co_u32 v36, s0, v36, s0
	v_add_co_ci_u32_e64 v37, s0, s1, v37, s0
	v_add_co_u32 v44, s0, v36, s12
	v_add_co_ci_u32_e64 v45, s0, s13, v37, s0
	global_load_dwordx4 v[36:39], v[36:37], off
	v_add_co_u32 v56, s0, v44, s12
	v_add_co_ci_u32_e64 v57, s0, s13, v45, s0
	global_load_dwordx4 v[40:43], v[228:229], off offset:976
	global_load_dwordx4 v[44:47], v[44:45], off
	s_clause 0x1
	global_load_dwordx4 v[48:51], v[254:255], off offset:240
	global_load_dwordx4 v[52:55], v[233:234], off offset:1552
	global_load_dwordx4 v[56:59], v[56:57], off
	s_waitcnt vmcnt(4)
	v_mul_f64 v[60:61], v[38:39], v[42:43]
	v_mul_f64 v[42:43], v[36:37], v[42:43]
	s_waitcnt vmcnt(2)
	v_mul_f64 v[62:63], v[46:47], v[50:51]
	v_mul_f64 v[50:51], v[44:45], v[50:51]
	;; [unrolled: 3-line block ×3, first 2 shown]
	v_fma_f64 v[36:37], v[36:37], v[40:41], v[60:61]
	v_fma_f64 v[38:39], v[38:39], v[40:41], -v[42:43]
	v_fma_f64 v[40:41], v[44:45], v[48:49], v[62:63]
	v_fma_f64 v[42:43], v[46:47], v[48:49], -v[50:51]
	;; [unrolled: 2-line block ×3, first 2 shown]
	ds_write_b128 v231, v[36:39] offset:3024
	ds_write_b128 v231, v[40:43] offset:6384
	;; [unrolled: 1-line block ×3, first 2 shown]
.LBB0_3:
	s_or_b32 exec_lo, exec_lo, s2
	s_waitcnt lgkmcnt(0)
	s_barrier
	buffer_gl0_inv
	ds_read_b128 v[64:67], v231
	ds_read_b128 v[56:59], v231 offset:1008
	ds_read_b128 v[44:47], v231 offset:6720
	;; [unrolled: 1-line block ×8, first 2 shown]
                                        ; implicit-def: $vgpr48_vgpr49
                                        ; implicit-def: $vgpr76_vgpr77
                                        ; implicit-def: $vgpr60_vgpr61
	s_and_saveexec_b32 s0, vcc_lo
	s_cbranch_execz .LBB0_5
; %bb.4:
	ds_read_b128 v[48:51], v231 offset:3024
	ds_read_b128 v[76:79], v231 offset:6384
	;; [unrolled: 1-line block ×3, first 2 shown]
.LBB0_5:
	s_or_b32 exec_lo, exec_lo, s0
	s_waitcnt lgkmcnt(4)
	v_add_f64 v[84:85], v[80:81], v[44:45]
	v_add_f64 v[86:87], v[82:83], v[46:47]
	s_waitcnt lgkmcnt(2)
	v_add_f64 v[90:91], v[72:73], v[40:41]
	v_add_f64 v[92:93], v[74:75], v[42:43]
	;; [unrolled: 1-line block ×3, first 2 shown]
	s_waitcnt lgkmcnt(0)
	v_add_f64 v[96:97], v[68:69], v[36:37]
	v_add_f64 v[100:101], v[70:71], v[38:39]
	;; [unrolled: 1-line block ×4, first 2 shown]
	v_add_f64 v[98:99], v[82:83], -v[46:47]
	v_add_f64 v[82:83], v[66:67], v[82:83]
	v_add_f64 v[106:107], v[74:75], -v[42:43]
	v_add_f64 v[74:75], v[58:59], v[74:75]
	v_add_f64 v[80:81], v[80:81], -v[44:45]
	v_add_f64 v[108:109], v[70:71], -v[38:39]
	v_add_f64 v[110:111], v[68:69], -v[36:37]
	v_add_f64 v[112:113], v[78:79], -v[62:63]
	v_add_f64 v[114:115], v[76:77], -v[60:61]
	v_add_co_u32 v89, s0, 0x7e, v232
	v_add_co_ci_u32_e64 v88, null, 0, 0, s0
	v_fma_f64 v[64:65], v[84:85], -0.5, v[64:65]
	v_add_f64 v[84:85], v[56:57], v[72:73]
	v_fma_f64 v[66:67], v[86:87], -0.5, v[66:67]
	v_add_f64 v[86:87], v[72:73], -v[40:41]
	v_fma_f64 v[56:57], v[90:91], -0.5, v[56:57]
	v_fma_f64 v[58:59], v[92:93], -0.5, v[58:59]
	v_add_f64 v[90:91], v[52:53], v[68:69]
	v_add_f64 v[92:93], v[54:55], v[70:71]
	v_fma_f64 v[52:53], v[96:97], -0.5, v[52:53]
	v_add_f64 v[96:97], v[48:49], v[76:77]
	v_fma_f64 v[54:55], v[100:101], -0.5, v[54:55]
	;; [unrolled: 2-line block ×4, first 2 shown]
	s_mov_b32 s0, 0xe8584caa
	s_load_dwordx2 s[2:3], s[4:5], 0x8
	s_mov_b32 s1, 0x3febb67a
	s_mov_b32 s5, 0xbfebb67a
	;; [unrolled: 1-line block ×3, first 2 shown]
	v_add_f64 v[46:47], v[82:83], v[46:47]
	v_add_f64 v[42:43], v[74:75], v[42:43]
	v_fma_f64 v[48:49], v[98:99], s[0:1], v[64:65]
	v_add_f64 v[40:41], v[84:85], v[40:41]
	v_fma_f64 v[50:51], v[80:81], s[4:5], v[66:67]
	v_fma_f64 v[64:65], v[98:99], s[4:5], v[64:65]
	;; [unrolled: 1-line block ×7, first 2 shown]
	v_add_f64 v[77:78], v[90:91], v[36:37]
	v_fma_f64 v[81:82], v[108:109], s[0:1], v[52:53]
	v_fma_f64 v[85:86], v[108:109], s[4:5], v[52:53]
	v_add_f64 v[79:80], v[92:93], v[38:39]
	v_fma_f64 v[83:84], v[110:111], s[4:5], v[54:55]
	v_fma_f64 v[87:88], v[110:111], s[0:1], v[54:55]
	;; [unrolled: 3-line block ×4, first 2 shown]
	v_add_co_u32 v188, null, v232, 63
	v_mul_lo_u16 v60, v232, 3
	v_mov_b32_e32 v61, 4
	v_add_co_u32 v76, null, 0xbd, v232
	v_mul_u32_u24_e32 v62, 3, v188
	s_waitcnt lgkmcnt(0)
	v_lshlrev_b32_sdwa v237, v61, v60 dst_sel:DWORD dst_unused:UNUSED_PAD src0_sel:DWORD src1_sel:WORD_0
	v_mul_u32_u24_e32 v60, 3, v89
	s_barrier
	v_lshlrev_b32_e32 v238, 4, v62
	buffer_gl0_inv
	ds_write_b128 v237, v[44:47]
	ds_write_b128 v237, v[48:51] offset:16
	ds_write_b128 v237, v[64:67] offset:32
	v_lshlrev_b32_e32 v236, 4, v60
	ds_write_b128 v238, v[40:43]
	ds_write_b128 v238, v[68:71] offset:16
	v_mul_u32_u24_e32 v40, 3, v76
	buffer_store_dword v40, off, s[36:39], 0 offset:4 ; 4-byte Folded Spill
	ds_write_b128 v238, v[72:75] offset:32
	ds_write_b128 v236, v[77:80]
	ds_write_b128 v236, v[81:84] offset:16
	ds_write_b128 v236, v[85:88] offset:32
	s_and_saveexec_b32 s0, vcc_lo
	s_cbranch_execz .LBB0_7
; %bb.6:
	v_mul_u32_u24_e32 v40, 3, v76
	v_lshlrev_b32_e32 v40, 4, v40
	ds_write_b128 v40, v[36:39]
	ds_write_b128 v40, v[52:55] offset:16
	ds_write_b128 v40, v[56:59] offset:32
.LBB0_7:
	s_or_b32 exec_lo, exec_lo, s0
	s_waitcnt lgkmcnt(0)
	s_waitcnt_vscnt null, 0x0
	s_barrier
	buffer_gl0_inv
	ds_read_b128 v[44:47], v231
	ds_read_b128 v[40:43], v231 offset:1008
	ds_read_b128 v[72:75], v231 offset:6720
	;; [unrolled: 1-line block ×8, first 2 shown]
	s_and_saveexec_b32 s0, vcc_lo
	s_cbranch_execz .LBB0_9
; %bb.8:
	ds_read_b128 v[36:39], v231 offset:3024
	ds_read_b128 v[52:55], v231 offset:6384
	;; [unrolled: 1-line block ×3, first 2 shown]
.LBB0_9:
	s_or_b32 exec_lo, exec_lo, s0
	v_and_b32_e32 v88, 0xff, v232
	v_and_b32_e32 v189, 0xff, v188
	;; [unrolled: 1-line block ×3, first 2 shown]
	s_mov_b32 s0, 0xe8584caa
	s_mov_b32 s1, 0x3febb67a
	v_mul_lo_u16 v77, 0xab, v88
	v_mul_lo_u16 v79, 0xab, v189
	;; [unrolled: 1-line block ×3, first 2 shown]
	s_mov_b32 s4, s0
	v_lshrrev_b16 v91, 9, v77
	v_and_b32_e32 v77, 0xff, v76
	v_lshrrev_b16 v158, 9, v79
	v_lshrrev_b16 v159, 9, v78
	v_mul_lo_u16 v79, v91, 3
	v_mul_lo_u16 v77, 0xab, v77
	v_mul_lo_u16 v78, v158, 3
	v_sub_nc_u16 v79, v232, v79
	v_lshrrev_b16 v239, 9, v77
	v_mul_lo_u16 v77, v159, 3
	v_sub_nc_u16 v78, v188, v78
	v_and_b32_e32 v160, 0xff, v79
	v_mul_lo_u16 v79, v239, 3
	v_sub_nc_u16 v77, v89, v77
	v_and_b32_e32 v161, 0xff, v78
	v_lshlrev_b32_e32 v78, 5, v160
	v_sub_nc_u16 v76, v76, v79
	v_and_b32_e32 v162, 0xff, v77
	v_lshlrev_b32_e32 v77, 5, v161
	s_clause 0x1
	global_load_dwordx4 v[136:139], v78, s[2:3]
	global_load_dwordx4 v[128:131], v78, s[2:3] offset:16
	v_and_b32_e32 v78, 0xff, v76
	v_lshlrev_b32_e32 v76, 5, v162
	s_clause 0x1
	global_load_dwordx4 v[124:127], v77, s[2:3]
	global_load_dwordx4 v[120:123], v77, s[2:3] offset:16
	v_lshlrev_b32_e32 v77, 5, v78
	buffer_store_dword v78, off, s[36:39], 0 ; 4-byte Folded Spill
	s_clause 0x3
	global_load_dwordx4 v[112:115], v76, s[2:3]
	global_load_dwordx4 v[92:95], v76, s[2:3] offset:16
	global_load_dwordx4 v[100:103], v77, s[2:3]
	global_load_dwordx4 v[76:79], v77, s[2:3] offset:16
	s_waitcnt vmcnt(0) lgkmcnt(0)
	s_waitcnt_vscnt null, 0x0
	s_barrier
	buffer_gl0_inv
	v_mul_f64 v[89:90], v[86:87], v[138:139]
	v_mul_f64 v[96:97], v[84:85], v[138:139]
	;; [unrolled: 1-line block ×16, first 2 shown]
	v_fma_f64 v[84:85], v[84:85], v[136:137], -v[89:90]
	v_fma_f64 v[86:87], v[86:87], v[136:137], v[96:97]
	v_fma_f64 v[72:73], v[72:73], v[128:129], -v[98:99]
	v_fma_f64 v[74:75], v[74:75], v[128:129], v[104:105]
	v_fma_f64 v[89:90], v[60:61], v[120:121], -v[110:111]
	v_fma_f64 v[80:81], v[80:81], v[124:125], -v[106:107]
	v_fma_f64 v[82:83], v[82:83], v[124:125], v[108:109]
	v_fma_f64 v[64:65], v[64:65], v[112:113], -v[118:119]
	v_fma_f64 v[68:69], v[68:69], v[92:93], -v[132:133]
	v_fma_f64 v[66:67], v[66:67], v[112:113], v[134:135]
	v_fma_f64 v[70:71], v[70:71], v[92:93], v[140:141]
	v_fma_f64 v[60:61], v[52:53], v[100:101], -v[142:143]
	v_fma_f64 v[52:53], v[56:57], v[76:77], -v[144:145]
	v_fma_f64 v[56:57], v[54:55], v[100:101], v[146:147]
	v_fma_f64 v[54:55], v[58:59], v[76:77], v[148:149]
	;; [unrolled: 1-line block ×3, first 2 shown]
	v_mov_b32_e32 v58, 9
	v_mul_u32_u24_sdwa v59, v91, v58 dst_sel:DWORD dst_unused:UNUSED_PAD src0_sel:WORD_0 src1_sel:DWORD
	v_add_f64 v[132:133], v[44:45], v[84:85]
	v_add_f64 v[96:97], v[84:85], v[72:73]
	;; [unrolled: 1-line block ×3, first 2 shown]
	v_add_f64 v[134:135], v[86:87], -v[74:75]
	v_add_f64 v[104:105], v[80:81], v[89:90]
	v_add_f64 v[86:87], v[46:47], v[86:87]
	v_add_f64 v[142:143], v[42:43], v[82:83]
	v_add_f64 v[108:109], v[64:65], v[68:69]
	v_add_f64 v[144:145], v[48:49], v[64:65]
	v_add_f64 v[110:111], v[66:67], v[70:71]
	v_add_f64 v[146:147], v[50:51], v[66:67]
	v_add_f64 v[116:117], v[60:61], v[52:53]
	v_add_f64 v[84:85], v[84:85], -v[72:73]
	v_add_f64 v[118:119], v[56:57], v[54:55]
	v_add_f64 v[106:107], v[82:83], v[62:63]
	v_add_f64 v[150:151], v[66:67], -v[70:71]
	v_add_f64 v[152:153], v[64:65], -v[68:69]
	;; [unrolled: 1-line block ×4, first 2 shown]
	v_add_f64 v[140:141], v[40:41], v[80:81]
	v_add_f64 v[82:83], v[82:83], -v[62:63]
	v_add_f64 v[148:149], v[80:81], -v[89:90]
	v_add_lshl_u32 v242, v59, v160, 4
	v_fma_f64 v[96:97], v[96:97], -0.5, v[44:45]
	v_fma_f64 v[98:99], v[98:99], -0.5, v[46:47]
	;; [unrolled: 1-line block ×3, first 2 shown]
	v_add_f64 v[40:41], v[132:133], v[72:73]
	v_add_f64 v[46:47], v[142:143], v[62:63]
	v_fma_f64 v[108:109], v[108:109], -0.5, v[48:49]
	v_add_f64 v[48:49], v[144:145], v[68:69]
	v_fma_f64 v[110:111], v[110:111], -0.5, v[50:51]
	;; [unrolled: 2-line block ×3, first 2 shown]
	v_fma_f64 v[118:119], v[118:119], -0.5, v[38:39]
	v_fma_f64 v[106:107], v[106:107], -0.5, v[42:43]
	v_add_f64 v[42:43], v[86:87], v[74:75]
	v_mul_u32_u24_sdwa v74, v158, v58 dst_sel:DWORD dst_unused:UNUSED_PAD src0_sel:WORD_0 src1_sel:DWORD
	v_mul_u32_u24_sdwa v75, v159, v58 dst_sel:DWORD dst_unused:UNUSED_PAD src0_sel:WORD_0 src1_sel:DWORD
	v_add_f64 v[44:45], v[140:141], v[89:90]
	v_add_lshl_u32 v241, v74, v161, 4
	v_add_lshl_u32 v240, v75, v162, 4
	v_fma_f64 v[62:63], v[134:135], s[0:1], v[96:97]
	v_fma_f64 v[66:67], v[134:135], s[4:5], v[96:97]
	;; [unrolled: 1-line block ×16, first 2 shown]
	ds_write_b128 v242, v[40:43]
	ds_write_b128 v242, v[62:65] offset:48
	ds_write_b128 v242, v[66:69] offset:96
	ds_write_b128 v241, v[44:47]
	ds_write_b128 v241, v[70:73] offset:48
	ds_write_b128 v241, v[80:83] offset:96
	;; [unrolled: 3-line block ×3, first 2 shown]
	s_and_saveexec_b32 s0, vcc_lo
	s_cbranch_execz .LBB0_11
; %bb.10:
	buffer_load_dword v41, off, s[36:39], 0 ; 4-byte Folded Reload
	v_add_f64 v[38:39], v[38:39], v[56:57]
	v_add_f64 v[36:37], v[36:37], v[60:61]
	v_mul_u32_u24_sdwa v40, v239, v58 dst_sel:DWORD dst_unused:UNUSED_PAD src0_sel:WORD_0 src1_sel:DWORD
	v_add_f64 v[38:39], v[38:39], v[54:55]
	v_add_f64 v[36:37], v[36:37], v[52:53]
	s_waitcnt vmcnt(0)
	v_add_lshl_u32 v40, v40, v41, 4
	ds_write_b128 v40, v[108:111] offset:48
	ds_write_b128 v40, v[36:39]
	ds_write_b128 v40, v[144:147] offset:96
.LBB0_11:
	s_or_b32 exec_lo, exec_lo, s0
	v_mul_lo_u16 v36, v88, 57
	v_mul_lo_u16 v37, v189, 57
	s_waitcnt lgkmcnt(0)
	s_barrier
	buffer_gl0_inv
	v_lshrrev_b16 v210, 9, v36
	v_lshrrev_b16 v211, 9, v37
	s_mov_b32 s4, 0x134454ff
	s_mov_b32 s5, 0x3fee6f0e
	;; [unrolled: 1-line block ×3, first 2 shown]
	v_mul_lo_u16 v36, v210, 9
	s_mov_b32 s14, s4
	s_mov_b32 s0, 0x4755a5e
	;; [unrolled: 1-line block ×4, first 2 shown]
	v_sub_nc_u16 v36, v232, v36
	s_mov_b32 s12, s0
	v_and_b32_e32 v212, 0xff, v36
	v_mul_lo_u16 v36, v211, 9
	v_lshlrev_b32_e32 v37, 6, v212
	v_sub_nc_u16 v36, v188, v36
	s_clause 0x1
	global_load_dwordx4 v[84:87], v37, s[2:3] offset:96
	global_load_dwordx4 v[80:83], v37, s[2:3] offset:112
	v_and_b32_e32 v213, 0xff, v36
	s_clause 0x1
	global_load_dwordx4 v[72:75], v37, s[2:3] offset:128
	global_load_dwordx4 v[68:71], v37, s[2:3] offset:144
	v_lshlrev_b32_e32 v36, 6, v213
	s_clause 0x3
	global_load_dwordx4 v[64:67], v36, s[2:3] offset:96
	global_load_dwordx4 v[56:59], v36, s[2:3] offset:112
	;; [unrolled: 1-line block ×4, first 2 shown]
	ds_read_b128 v[36:39], v231 offset:2016
	ds_read_b128 v[40:43], v231 offset:4032
	;; [unrolled: 1-line block ×8, first 2 shown]
	ds_read_b128 v[132:135], v231
	s_waitcnt vmcnt(7) lgkmcnt(8)
	v_mul_f64 v[140:141], v[38:39], v[86:87]
	s_waitcnt vmcnt(6) lgkmcnt(7)
	v_mul_f64 v[148:149], v[42:43], v[82:83]
	v_mul_f64 v[150:151], v[40:41], v[82:83]
	s_waitcnt vmcnt(5) lgkmcnt(6)
	v_mul_f64 v[152:153], v[46:47], v[74:75]
	;; [unrolled: 3-line block ×3, first 2 shown]
	v_mul_f64 v[142:143], v[36:37], v[86:87]
	v_mul_f64 v[154:155], v[60:61], v[70:71]
	s_waitcnt vmcnt(3) lgkmcnt(4)
	v_mul_f64 v[160:161], v[90:91], v[66:67]
	s_waitcnt vmcnt(2) lgkmcnt(3)
	v_mul_f64 v[164:165], v[98:99], v[58:59]
	v_mul_f64 v[166:167], v[96:97], v[58:59]
	s_waitcnt vmcnt(1) lgkmcnt(2)
	v_mul_f64 v[168:169], v[106:107], v[54:55]
	v_mul_f64 v[170:171], v[104:105], v[54:55]
	;; [unrolled: 1-line block ×3, first 2 shown]
	s_waitcnt vmcnt(0) lgkmcnt(1)
	v_mul_f64 v[172:173], v[118:119], v[50:51]
	v_mul_f64 v[174:175], v[116:117], v[50:51]
	v_fma_f64 v[140:141], v[36:37], v[84:85], -v[140:141]
	v_fma_f64 v[40:41], v[40:41], v[80:81], -v[148:149]
	v_fma_f64 v[42:43], v[42:43], v[80:81], v[150:151]
	v_fma_f64 v[44:45], v[44:45], v[72:73], -v[152:153]
	v_fma_f64 v[46:47], v[46:47], v[72:73], v[156:157]
	;; [unrolled: 2-line block ×3, first 2 shown]
	ds_read_b128 v[36:39], v231 offset:1008
	v_fma_f64 v[62:63], v[62:63], v[68:69], v[154:155]
	v_fma_f64 v[88:89], v[88:89], v[64:65], -v[160:161]
	v_fma_f64 v[96:97], v[96:97], v[56:57], -v[164:165]
	v_fma_f64 v[98:99], v[98:99], v[56:57], v[166:167]
	v_fma_f64 v[104:105], v[104:105], v[52:53], -v[168:169]
	v_fma_f64 v[106:107], v[106:107], v[52:53], v[170:171]
	v_fma_f64 v[90:91], v[90:91], v[64:65], v[162:163]
	v_fma_f64 v[116:117], v[116:117], v[48:49], -v[172:173]
	v_fma_f64 v[118:119], v[118:119], v[48:49], v[174:175]
	s_waitcnt lgkmcnt(0)
	s_barrier
	buffer_gl0_inv
	v_add_f64 v[148:149], v[132:133], v[140:141]
	v_add_f64 v[156:157], v[140:141], -v[40:41]
	v_add_f64 v[162:163], v[40:41], -v[140:141]
	v_add_f64 v[150:151], v[40:41], v[44:45]
	v_add_f64 v[168:169], v[42:43], v[46:47]
	;; [unrolled: 1-line block ×3, first 2 shown]
	v_add_f64 v[158:159], v[60:61], -v[44:45]
	v_add_f64 v[166:167], v[134:135], v[142:143]
	v_add_f64 v[176:177], v[142:143], v[62:63]
	v_add_f64 v[152:153], v[142:143], -v[62:63]
	v_add_f64 v[154:155], v[42:43], -v[46:47]
	;; [unrolled: 1-line block ×3, first 2 shown]
	v_add_f64 v[180:181], v[96:97], v[104:105]
	v_add_f64 v[190:191], v[98:99], v[106:107]
	v_add_f64 v[140:141], v[140:141], -v[60:61]
	v_add_f64 v[184:185], v[88:89], v[116:117]
	v_add_f64 v[194:195], v[90:91], v[118:119]
	v_add_f64 v[172:173], v[142:143], -v[42:43]
	v_add_f64 v[174:175], v[62:63], -v[46:47]
	;; [unrolled: 1-line block ×4, first 2 shown]
	v_add_f64 v[204:205], v[38:39], v[90:91]
	v_add_f64 v[170:171], v[40:41], -v[44:45]
	v_add_f64 v[182:183], v[36:37], v[88:89]
	v_add_f64 v[186:187], v[90:91], -v[118:119]
	v_fma_f64 v[150:151], v[150:151], -0.5, v[132:133]
	v_fma_f64 v[168:169], v[168:169], -0.5, v[134:135]
	;; [unrolled: 1-line block ×3, first 2 shown]
	v_add_f64 v[196:197], v[88:89], -v[96:97]
	v_add_f64 v[200:201], v[96:97], -v[88:89]
	v_fma_f64 v[134:135], v[176:177], -0.5, v[134:135]
	v_add_f64 v[88:89], v[88:89], -v[116:117]
	v_add_f64 v[40:41], v[148:149], v[40:41]
	v_add_f64 v[148:149], v[156:157], v[158:159]
	v_fma_f64 v[180:181], v[180:181], -0.5, v[36:37]
	v_fma_f64 v[156:157], v[190:191], -0.5, v[38:39]
	v_add_f64 v[192:193], v[98:99], -v[106:107]
	v_add_f64 v[198:199], v[116:117], -v[104:105]
	;; [unrolled: 1-line block ×3, first 2 shown]
	v_fma_f64 v[36:37], v[184:185], -0.5, v[36:37]
	v_fma_f64 v[38:39], v[194:195], -0.5, v[38:39]
	v_add_f64 v[42:43], v[166:167], v[42:43]
	v_add_f64 v[208:209], v[90:91], -v[98:99]
	v_add_f64 v[90:91], v[98:99], -v[90:91]
	;; [unrolled: 1-line block ×3, first 2 shown]
	v_add_f64 v[158:159], v[162:163], v[164:165]
	v_add_f64 v[162:163], v[172:173], v[174:175]
	;; [unrolled: 1-line block ×4, first 2 shown]
	v_fma_f64 v[172:173], v[152:153], s[4:5], v[150:151]
	v_fma_f64 v[174:175], v[154:155], s[14:15], v[132:133]
	;; [unrolled: 1-line block ×4, first 2 shown]
	v_add_f64 v[96:97], v[182:183], v[96:97]
	v_fma_f64 v[182:183], v[170:171], s[4:5], v[134:135]
	v_fma_f64 v[134:135], v[170:171], s[14:15], v[134:135]
	;; [unrolled: 1-line block ×4, first 2 shown]
	v_add_f64 v[160:161], v[118:119], -v[106:107]
	v_fma_f64 v[184:185], v[186:187], s[4:5], v[180:181]
	v_fma_f64 v[194:195], v[88:89], s[14:15], v[156:157]
	v_add_f64 v[202:203], v[104:105], -v[116:117]
	v_add_f64 v[164:165], v[196:197], v[198:199]
	v_fma_f64 v[190:191], v[192:193], s[14:15], v[36:37]
	v_fma_f64 v[196:197], v[206:207], s[4:5], v[38:39]
	v_fma_f64 v[36:37], v[192:193], s[4:5], v[36:37]
	v_fma_f64 v[38:39], v[206:207], s[14:15], v[38:39]
	v_fma_f64 v[180:181], v[186:187], s[14:15], v[180:181]
	v_fma_f64 v[156:157], v[88:89], s[4:5], v[156:157]
	v_add_f64 v[40:41], v[40:41], v[44:45]
	v_add_f64 v[42:43], v[42:43], v[46:47]
	;; [unrolled: 1-line block ×4, first 2 shown]
	v_fma_f64 v[90:91], v[154:155], s[0:1], v[172:173]
	v_fma_f64 v[106:107], v[152:153], s[12:13], v[132:133]
	;; [unrolled: 1-line block ×3, first 2 shown]
	v_add_f64 v[44:45], v[96:97], v[104:105]
	v_fma_f64 v[98:99], v[152:153], s[0:1], v[174:175]
	v_fma_f64 v[152:153], v[140:141], s[12:13], v[182:183]
	;; [unrolled: 1-line block ×5, first 2 shown]
	v_add_f64 v[160:161], v[208:209], v[160:161]
	v_fma_f64 v[140:141], v[192:193], s[0:1], v[184:185]
	v_fma_f64 v[172:173], v[206:207], s[12:13], v[194:195]
	v_add_f64 v[166:167], v[200:201], v[202:203]
	v_fma_f64 v[168:169], v[186:187], s[0:1], v[190:191]
	v_fma_f64 v[174:175], v[88:89], s[12:13], v[196:197]
	;; [unrolled: 1-line block ×6, first 2 shown]
	s_mov_b32 s0, 0x372fe950
	s_mov_b32 s1, 0x3fd3c6ef
	v_add_f64 v[36:37], v[40:41], v[60:61]
	v_add_f64 v[38:39], v[42:43], v[62:63]
	v_fma_f64 v[88:89], v[148:149], s[0:1], v[90:91]
	v_fma_f64 v[90:91], v[162:163], s[0:1], v[132:133]
	v_add_f64 v[40:41], v[44:45], v[116:117]
	v_fma_f64 v[104:105], v[158:159], s[0:1], v[98:99]
	v_fma_f64 v[116:117], v[158:159], s[0:1], v[106:107]
	;; [unrolled: 1-line block ×3, first 2 shown]
	v_add_f64 v[42:43], v[46:47], v[118:119]
	v_fma_f64 v[118:119], v[142:143], s[0:1], v[134:135]
	v_fma_f64 v[96:97], v[148:149], s[0:1], v[96:97]
	;; [unrolled: 1-line block ×5, first 2 shown]
	v_mov_b32_e32 v180, 45
	v_fma_f64 v[148:149], v[166:167], s[0:1], v[168:169]
	v_fma_f64 v[150:151], v[176:177], s[0:1], v[174:175]
	;; [unrolled: 1-line block ×6, first 2 shown]
	v_mul_u32_u24_sdwa v140, v210, v180 dst_sel:DWORD dst_unused:UNUSED_PAD src0_sel:WORD_0 src1_sel:DWORD
	v_mul_u32_u24_sdwa v141, v211, v180 dst_sel:DWORD dst_unused:UNUSED_PAD src0_sel:WORD_0 src1_sel:DWORD
	v_cmp_gt_u16_e64 s0, 27, v232
                                        ; implicit-def: $vgpr160_vgpr161
                                        ; implicit-def: $vgpr156_vgpr157
	v_add_lshl_u32 v244, v140, v212, 4
	v_add_lshl_u32 v243, v141, v213, 4
	ds_write_b128 v244, v[36:39]
	ds_write_b128 v244, v[88:91] offset:144
	ds_write_b128 v244, v[104:107] offset:288
	;; [unrolled: 1-line block ×4, first 2 shown]
	ds_write_b128 v243, v[40:43]
	ds_write_b128 v243, v[132:135] offset:144
	ds_write_b128 v243, v[148:151] offset:288
	ds_write_b128 v243, v[44:47] offset:432
	ds_write_b128 v243, v[60:63] offset:576
	s_waitcnt lgkmcnt(0)
	s_barrier
	buffer_gl0_inv
	ds_read_b128 v[152:155], v231
	ds_read_b128 v[116:119], v231 offset:1440
	ds_read_b128 v[104:107], v231 offset:2880
	;; [unrolled: 1-line block ×6, first 2 shown]
	s_and_saveexec_b32 s1, s0
	s_cbranch_execz .LBB0_13
; %bb.12:
	ds_read_b128 v[148:151], v231 offset:1008
	ds_read_b128 v[44:47], v231 offset:2448
	;; [unrolled: 1-line block ×7, first 2 shown]
.LBB0_13:
	s_or_b32 exec_lo, exec_lo, s1
	v_subrev_nc_u32_e32 v88, 45, v232
	v_cmp_gt_u16_e64 s1, 45, v232
	s_mov_b32 s14, 0xaaaaaaaa
	s_mov_b32 s15, 0xbff2aaaa
	s_mov_b32 s20, 0xe976ee23
	s_mov_b32 s21, 0xbfe11646
	v_cndmask_b32_e64 v222, v88, v232, s1
	s_mov_b32 s16, 0x429ad128
	s_mov_b32 s22, 0x37e14327
	;; [unrolled: 1-line block ×4, first 2 shown]
	v_mul_i32_i24_e32 v88, 0x60, v222
	v_mul_hi_i32_i24_e32 v89, 0x60, v222
	s_mov_b32 s4, 0x36b3c0b5
	s_mov_b32 s18, 0x5476071b
	s_mov_b32 s26, 0xb247c609
	v_add_co_u32 v180, s1, s2, v88
	v_add_co_ci_u32_e64 v181, s1, s3, v89, s1
	v_cmp_lt_u16_e64 s1, 44, v232
	s_mov_b32 s5, 0x3fac98ee
	s_clause 0x1
	global_load_dwordx4 v[88:91], v[180:181], off offset:672
	global_load_dwordx4 v[96:99], v[180:181], off offset:688
	s_mov_b32 s19, 0x3fe77f67
	s_mov_b32 s25, 0xbfe77f67
	;; [unrolled: 1-line block ×8, first 2 shown]
	s_waitcnt vmcnt(1) lgkmcnt(5)
	v_mul_f64 v[164:165], v[118:119], v[90:91]
	v_fma_f64 v[166:167], v[116:117], v[88:89], -v[164:165]
	v_mul_f64 v[116:117], v[116:117], v[90:91]
	v_fma_f64 v[164:165], v[118:119], v[88:89], v[116:117]
	s_waitcnt vmcnt(0) lgkmcnt(4)
	v_mul_f64 v[116:117], v[106:107], v[98:99]
	v_fma_f64 v[170:171], v[104:105], v[96:97], -v[116:117]
	v_mul_f64 v[104:105], v[104:105], v[98:99]
	v_fma_f64 v[168:169], v[106:107], v[96:97], v[104:105]
	s_clause 0x1
	global_load_dwordx4 v[104:107], v[180:181], off offset:704
	global_load_dwordx4 v[116:119], v[180:181], off offset:720
	s_waitcnt vmcnt(1) lgkmcnt(3)
	v_mul_f64 v[172:173], v[142:143], v[106:107]
	v_fma_f64 v[174:175], v[140:141], v[104:105], -v[172:173]
	v_mul_f64 v[140:141], v[140:141], v[106:107]
	v_fma_f64 v[172:173], v[142:143], v[104:105], v[140:141]
	s_waitcnt vmcnt(0) lgkmcnt(2)
	v_mul_f64 v[140:141], v[134:135], v[118:119]
	v_fma_f64 v[178:179], v[132:133], v[116:117], -v[140:141]
	v_mul_f64 v[132:133], v[132:133], v[118:119]
	v_add_f64 v[208:209], v[174:175], v[178:179]
	v_fma_f64 v[176:177], v[134:135], v[116:117], v[132:133]
	s_clause 0x1
	global_load_dwordx4 v[132:135], v[180:181], off offset:736
	global_load_dwordx4 v[140:143], v[180:181], off offset:752
	v_add_f64 v[212:213], v[172:173], v[176:177]
	s_waitcnt vmcnt(1) lgkmcnt(1)
	v_mul_f64 v[180:181], v[42:43], v[134:135]
	v_fma_f64 v[182:183], v[40:41], v[132:133], -v[180:181]
	v_mul_f64 v[40:41], v[40:41], v[134:135]
	v_add_f64 v[214:215], v[170:171], v[182:183]
	v_fma_f64 v[180:181], v[42:43], v[132:133], v[40:41]
	s_waitcnt vmcnt(0) lgkmcnt(0)
	v_mul_f64 v[40:41], v[38:39], v[142:143]
	v_add_f64 v[216:217], v[168:169], v[180:181]
	v_fma_f64 v[186:187], v[36:37], v[140:141], -v[40:41]
	v_mul_f64 v[36:37], v[36:37], v[142:143]
	v_add_f64 v[206:207], v[166:167], v[186:187]
	v_fma_f64 v[184:185], v[38:39], v[140:141], v[36:37]
	v_mul_lo_u16 v36, 0x6d, v189
	v_lshrrev_b16 v36, 8, v36
	v_sub_nc_u16 v37, v188, v36
	v_lshrrev_b16 v37, 1, v37
	v_and_b32_e32 v37, 0x7f, v37
	v_add_f64 v[210:211], v[164:165], v[184:185]
	v_add_nc_u16 v36, v37, v36
	v_lshrrev_b16 v36, 5, v36
	v_mul_lo_u16 v36, v36, 45
	v_sub_nc_u16 v235, v188, v36
	v_and_b32_e32 v223, 0xff, v235
	v_mad_u64_u32 v[204:205], null, 0x60, v223, s[2:3]
	s_clause 0x1
	global_load_dwordx4 v[36:39], v[204:205], off offset:672
	global_load_dwordx4 v[40:43], v[204:205], off offset:688
	s_waitcnt vmcnt(1)
	v_mul_f64 v[188:189], v[46:47], v[38:39]
	v_fma_f64 v[190:191], v[44:45], v[36:37], -v[188:189]
	v_mul_f64 v[44:45], v[44:45], v[38:39]
	v_fma_f64 v[188:189], v[46:47], v[36:37], v[44:45]
	s_waitcnt vmcnt(0)
	v_mul_f64 v[44:45], v[62:63], v[42:43]
	v_fma_f64 v[194:195], v[60:61], v[40:41], -v[44:45]
	v_mul_f64 v[44:45], v[60:61], v[42:43]
	v_fma_f64 v[192:193], v[62:63], v[40:41], v[44:45]
	s_clause 0x1
	global_load_dwordx4 v[44:47], v[204:205], off offset:704
	global_load_dwordx4 v[60:63], v[204:205], off offset:720
	s_waitcnt vmcnt(1)
	v_mul_f64 v[196:197], v[110:111], v[46:47]
	v_fma_f64 v[198:199], v[108:109], v[44:45], -v[196:197]
	v_mul_f64 v[108:109], v[108:109], v[46:47]
	v_fma_f64 v[196:197], v[110:111], v[44:45], v[108:109]
	s_waitcnt vmcnt(0)
	v_mul_f64 v[108:109], v[146:147], v[62:63]
	v_fma_f64 v[202:203], v[144:145], v[60:61], -v[108:109]
	v_mul_f64 v[108:109], v[144:145], v[62:63]
	v_fma_f64 v[200:201], v[146:147], v[60:61], v[108:109]
	s_clause 0x1
	global_load_dwordx4 v[108:111], v[204:205], off offset:736
	global_load_dwordx4 v[144:147], v[204:205], off offset:752
	s_waitcnt vmcnt(0)
	s_barrier
	buffer_gl0_inv
	v_mul_f64 v[204:205], v[162:163], v[110:111]
	v_fma_f64 v[204:205], v[160:161], v[108:109], -v[204:205]
	v_mul_f64 v[160:161], v[160:161], v[110:111]
	v_fma_f64 v[160:161], v[162:163], v[108:109], v[160:161]
	v_add_f64 v[162:163], v[214:215], v[206:207]
	v_add_f64 v[218:219], v[208:209], v[162:163]
	;; [unrolled: 1-line block ×5, first 2 shown]
	v_mul_f64 v[162:163], v[158:159], v[146:147]
	v_add_f64 v[154:155], v[154:155], v[224:225]
	v_fma_f64 v[162:163], v[156:157], v[144:145], -v[162:163]
	v_mul_f64 v[156:157], v[156:157], v[146:147]
	v_fma_f64 v[156:157], v[158:159], v[144:145], v[156:157]
	v_cndmask_b32_e64 v158, 0, 0x13b, s1
	v_add_lshl_u32 v245, v222, v158, 4
	v_fma_f64 v[158:159], v[218:219], s[14:15], v[152:153]
	v_fma_f64 v[218:219], v[224:225], s[14:15], v[154:155]
	ds_write_b128 v245, v[152:155]
	v_add_f64 v[152:153], v[170:171], -v[182:183]
	v_add_f64 v[170:171], v[178:179], -v[174:175]
	;; [unrolled: 1-line block ×13, first 2 shown]
	v_add_f64 v[164:165], v[170:171], v[152:153]
	v_add_f64 v[184:185], v[152:153], -v[174:175]
	v_add_f64 v[152:153], v[168:169], v[154:155]
	v_add_f64 v[214:215], v[154:155], -v[172:173]
	v_add_f64 v[186:187], v[168:169], -v[154:155]
	;; [unrolled: 1-line block ×4, first 2 shown]
	v_mul_f64 v[154:155], v[182:183], s[4:5]
	v_mul_f64 v[226:227], v[166:167], s[20:21]
	v_add_f64 v[216:217], v[164:165], v[174:175]
	v_mul_f64 v[168:169], v[184:185], s[16:17]
	v_add_f64 v[224:225], v[152:153], v[172:173]
	v_mul_f64 v[170:171], v[214:215], s[16:17]
	v_mul_f64 v[152:153], v[178:179], s[4:5]
	;; [unrolled: 1-line block ×3, first 2 shown]
	v_fma_f64 v[154:155], v[180:181], s[18:19], -v[154:155]
	v_fma_f64 v[164:165], v[184:185], s[16:17], -v[226:227]
	v_mul_f64 v[184:185], v[206:207], s[22:23]
	v_mul_f64 v[206:207], v[208:209], s[22:23]
	v_fma_f64 v[168:169], v[210:211], s[28:29], -v[168:169]
	v_fma_f64 v[170:171], v[212:213], s[28:29], -v[170:171]
	;; [unrolled: 1-line block ×3, first 2 shown]
	v_add_f64 v[208:209], v[188:189], v[156:157]
	v_add_f64 v[156:157], v[188:189], -v[156:157]
	v_add_f64 v[248:249], v[154:155], v[218:219]
	v_fma_f64 v[166:167], v[216:217], s[12:13], v[164:165]
	v_fma_f64 v[172:173], v[176:177], s[24:25], -v[184:185]
	v_fma_f64 v[174:175], v[180:181], s[24:25], -v[206:207]
	v_fma_f64 v[176:177], v[216:217], s[12:13], v[168:169]
	v_fma_f64 v[180:181], v[224:225], s[12:13], v[170:171]
	;; [unrolled: 1-line block ×4, first 2 shown]
	v_fma_f64 v[164:165], v[214:215], s[16:17], -v[186:187]
	v_add_f64 v[246:247], v[152:153], v[158:159]
	v_add_f64 v[154:155], v[166:167], v[248:249]
	;; [unrolled: 1-line block ×4, first 2 shown]
	v_add_f64 v[166:167], v[248:249], -v[166:167]
	v_add_f64 v[158:159], v[178:179], v[158:159]
	v_add_f64 v[182:183], v[182:183], v[218:219]
	v_fma_f64 v[164:165], v[224:225], s[12:13], v[164:165]
	v_add_f64 v[168:169], v[180:181], v[172:173]
	v_add_f64 v[170:171], v[174:175], -v[176:177]
	v_add_f64 v[172:173], v[172:173], -v[180:181]
	v_add_f64 v[174:175], v[176:177], v[174:175]
	v_fma_f64 v[176:177], v[210:211], s[26:27], v[226:227]
	v_fma_f64 v[180:181], v[212:213], s[26:27], v[186:187]
	v_add_f64 v[152:153], v[246:247], -v[164:165]
	v_add_f64 v[164:165], v[164:165], v[246:247]
	v_add_f64 v[186:187], v[198:199], v[202:203]
	v_add_f64 v[210:211], v[192:193], v[160:161]
	v_add_f64 v[160:161], v[192:193], -v[160:161]
	v_add_f64 v[212:213], v[196:197], v[200:201]
	v_fma_f64 v[184:185], v[216:217], s[12:13], v[176:177]
	v_fma_f64 v[180:181], v[224:225], s[12:13], v[180:181]
	v_add_f64 v[214:215], v[210:211], v[208:209]
	v_add_f64 v[178:179], v[182:183], -v[184:185]
	v_add_f64 v[176:177], v[180:181], v[158:159]
	v_add_f64 v[180:181], v[158:159], -v[180:181]
	v_add_f64 v[182:183], v[184:185], v[182:183]
	ds_write_b128 v245, v[176:179] offset:720
	ds_write_b128 v245, v[168:171] offset:1440
	;; [unrolled: 1-line block ×6, first 2 shown]
	v_add_f64 v[152:153], v[194:195], -v[204:205]
	v_add_f64 v[154:155], v[202:203], -v[198:199]
	v_add_f64 v[158:159], v[190:191], v[162:163]
	v_add_f64 v[184:185], v[194:195], v[204:205]
	v_add_f64 v[162:163], v[190:191], -v[162:163]
	v_add_f64 v[164:165], v[200:201], -v[196:197]
	v_add_f64 v[214:215], v[212:213], v[214:215]
	v_add_f64 v[172:173], v[212:213], -v[210:211]
	v_add_f64 v[170:171], v[210:211], -v[208:209]
	;; [unrolled: 1-line block ×3, first 2 shown]
	v_add_f64 v[174:175], v[154:155], v[152:153]
	v_add_f64 v[206:207], v[184:185], v[158:159]
	v_add_f64 v[166:167], v[184:185], -v[158:159]
	v_add_f64 v[168:169], v[186:187], -v[184:185]
	;; [unrolled: 1-line block ×5, first 2 shown]
	v_add_f64 v[178:179], v[164:165], v[160:161]
	v_add_f64 v[160:161], v[160:161], -v[156:157]
	v_add_f64 v[154:155], v[162:163], -v[154:155]
	v_add_f64 v[150:151], v[150:151], v[214:215]
	v_mul_f64 v[188:189], v[176:177], s[20:21]
	v_add_f64 v[174:175], v[174:175], v[162:163]
	v_add_f64 v[206:207], v[186:187], v[206:207]
	v_add_f64 v[186:187], v[208:209], -v[212:213]
	v_mul_f64 v[176:177], v[168:169], s[4:5]
	v_mul_f64 v[190:191], v[180:181], s[20:21]
	;; [unrolled: 1-line block ×3, first 2 shown]
	v_add_f64 v[184:185], v[178:179], v[156:157]
	v_add_f64 v[156:157], v[156:157], -v[164:165]
	v_mul_f64 v[178:179], v[172:173], s[4:5]
	v_fma_f64 v[194:195], v[214:215], s[14:15], v[150:151]
	v_fma_f64 v[180:181], v[152:153], s[16:17], -v[188:189]
	v_mul_f64 v[152:153], v[152:153], s[16:17]
	v_add_f64 v[148:149], v[148:149], v[206:207]
	v_fma_f64 v[176:177], v[166:167], s[18:19], -v[176:177]
	v_fma_f64 v[162:163], v[168:169], s[4:5], v[158:159]
	v_fma_f64 v[166:167], v[166:167], s[24:25], -v[158:159]
	v_fma_f64 v[158:159], v[154:155], s[26:27], v[188:189]
	v_fma_f64 v[178:179], v[170:171], s[18:19], -v[178:179]
	v_fma_f64 v[182:183], v[174:175], s[12:13], v[180:181]
	v_fma_f64 v[152:153], v[154:155], s[28:29], -v[152:153]
	v_mul_f64 v[154:155], v[160:161], s[16:17]
	v_fma_f64 v[180:181], v[160:161], s[16:17], -v[190:191]
	v_fma_f64 v[160:161], v[156:157], s[26:27], v[190:191]
	v_fma_f64 v[192:193], v[206:207], s[14:15], v[148:149]
	v_add_f64 v[198:199], v[178:179], v[194:195]
	v_fma_f64 v[164:165], v[174:175], s[12:13], v[152:153]
	v_fma_f64 v[154:155], v[156:157], s[28:29], -v[154:155]
	v_mul_f64 v[156:157], v[186:187], s[22:23]
	v_fma_f64 v[180:181], v[184:185], s[12:13], v[180:181]
	v_add_f64 v[196:197], v[176:177], v[192:193]
	v_fma_f64 v[152:153], v[184:185], s[12:13], v[160:161]
	v_add_f64 v[160:161], v[166:167], v[192:193]
	v_add_f64 v[178:179], v[182:183], v[198:199]
	v_add_f64 v[182:183], v[198:199], -v[182:183]
	v_fma_f64 v[154:155], v[184:185], s[12:13], v[154:155]
	v_fma_f64 v[168:169], v[170:171], s[24:25], -v[156:157]
	v_fma_f64 v[170:171], v[172:173], s[4:5], v[156:157]
	v_fma_f64 v[156:157], v[174:175], s[12:13], v[158:159]
	v_add_f64 v[158:159], v[162:163], v[192:193]
	v_add_f64 v[176:177], v[196:197], -v[180:181]
	v_add_f64 v[180:181], v[180:181], v[196:197]
	v_add_f64 v[166:167], v[168:169], v[194:195]
	;; [unrolled: 1-line block ×3, first 2 shown]
	v_add_f64 v[168:169], v[160:161], -v[154:155]
	v_add_f64 v[172:173], v[158:159], -v[152:153]
	v_add_f64 v[170:171], v[164:165], v[166:167]
	v_add_f64 v[174:175], v[156:157], v[162:163]
	s_and_saveexec_b32 s1, s0
	s_cbranch_execz .LBB0_15
; %bb.14:
	v_add_f64 v[186:187], v[162:163], -v[156:157]
	v_add_f64 v[184:185], v[152:153], v[158:159]
	v_add_f64 v[164:165], v[166:167], -v[164:165]
	v_add_f64 v[162:163], v[154:155], v[160:161]
	v_lshlrev_b32_e32 v152, 4, v223
	ds_write_b128 v152, v[148:151] offset:5040
	ds_write_b128 v152, v[176:179] offset:7200
	;; [unrolled: 1-line block ×7, first 2 shown]
.LBB0_15:
	s_or_b32 exec_lo, exec_lo, s1
	v_add_co_u32 v164, s1, s2, v231
	v_add_co_ci_u32_e64 v165, null, s3, 0, s1
	s_waitcnt lgkmcnt(0)
	v_add_co_u32 v152, s1, 0x1000, v164
	v_add_co_ci_u32_e64 v153, s1, 0, v165, s1
	s_barrier
	buffer_gl0_inv
	v_add_co_u32 v160, s1, 0x1800, v164
	global_load_dwordx4 v[148:151], v[152:153], off offset:896
	v_add_co_ci_u32_e64 v161, s1, 0, v165, s1
	s_clause 0x2
	global_load_dwordx4 v[152:155], v[152:153], off offset:1904
	global_load_dwordx4 v[156:159], v[160:161], off offset:864
	;; [unrolled: 1-line block ×3, first 2 shown]
	v_add_co_u32 v164, s1, 0x2000, v164
	v_add_co_ci_u32_e64 v165, s1, 0, v165, s1
	global_load_dwordx4 v[164:167], v[164:165], off offset:832
	ds_read_b128 v[184:187], v231 offset:5040
	ds_read_b128 v[188:191], v231 offset:6048
	;; [unrolled: 1-line block ×5, first 2 shown]
	s_waitcnt vmcnt(4) lgkmcnt(4)
	v_mul_f64 v[200:201], v[186:187], v[150:151]
	v_mul_f64 v[202:203], v[184:185], v[150:151]
	s_waitcnt vmcnt(3) lgkmcnt(3)
	v_mul_f64 v[204:205], v[190:191], v[154:155]
	v_mul_f64 v[206:207], v[188:189], v[154:155]
	;; [unrolled: 3-line block ×3, first 2 shown]
	v_fma_f64 v[200:201], v[184:185], v[148:149], -v[200:201]
	v_fma_f64 v[202:203], v[186:187], v[148:149], v[202:203]
	ds_read_b128 v[184:187], v231 offset:9072
	s_waitcnt vmcnt(1) lgkmcnt(2)
	v_mul_f64 v[212:213], v[198:199], v[162:163]
	v_mul_f64 v[214:215], v[196:197], v[162:163]
	v_fma_f64 v[204:205], v[188:189], v[152:153], -v[204:205]
	v_fma_f64 v[206:207], v[190:191], v[152:153], v[206:207]
	ds_read_b128 v[188:191], v231
	v_fma_f64 v[208:209], v[192:193], v[156:157], -v[208:209]
	v_fma_f64 v[210:211], v[194:195], v[156:157], v[210:211]
	v_fma_f64 v[212:213], v[196:197], v[160:161], -v[212:213]
	v_fma_f64 v[214:215], v[198:199], v[160:161], v[214:215]
	s_waitcnt vmcnt(0) lgkmcnt(1)
	v_mul_f64 v[196:197], v[186:187], v[166:167]
	v_mul_f64 v[198:199], v[184:185], v[166:167]
	v_fma_f64 v[222:223], v[184:185], v[164:165], -v[196:197]
	v_fma_f64 v[224:225], v[186:187], v[164:165], v[198:199]
	ds_read_b128 v[184:187], v231 offset:1008
	s_waitcnt lgkmcnt(1)
	v_add_f64 v[192:193], v[188:189], -v[200:201]
	v_add_f64 v[194:195], v[190:191], -v[202:203]
	s_waitcnt lgkmcnt(0)
	v_add_f64 v[196:197], v[184:185], -v[204:205]
	v_add_f64 v[198:199], v[186:187], -v[206:207]
	v_fma_f64 v[188:189], v[188:189], 2.0, -v[192:193]
	v_fma_f64 v[190:191], v[190:191], 2.0, -v[194:195]
	;; [unrolled: 1-line block ×4, first 2 shown]
	ds_read_b128 v[184:187], v231 offset:2016
	s_waitcnt lgkmcnt(0)
	v_add_f64 v[204:205], v[184:185], -v[208:209]
	v_add_f64 v[206:207], v[186:187], -v[210:211]
	v_fma_f64 v[208:209], v[184:185], 2.0, -v[204:205]
	v_fma_f64 v[210:211], v[186:187], 2.0, -v[206:207]
	ds_read_b128 v[184:187], v231 offset:3024
	s_waitcnt lgkmcnt(0)
	v_add_f64 v[212:213], v[184:185], -v[212:213]
	v_add_f64 v[214:215], v[186:187], -v[214:215]
	v_fma_f64 v[216:217], v[184:185], 2.0, -v[212:213]
	v_fma_f64 v[218:219], v[186:187], 2.0, -v[214:215]
	v_add_f64 v[184:185], v[246:247], -v[222:223]
	v_add_f64 v[186:187], v[248:249], -v[224:225]
	v_fma_f64 v[246:247], v[246:247], 2.0, -v[184:185]
	v_fma_f64 v[248:249], v[248:249], 2.0, -v[186:187]
	ds_write_b128 v231, v[192:195] offset:5040
	ds_write_b128 v231, v[196:199] offset:6048
	;; [unrolled: 1-line block ×5, first 2 shown]
	ds_write_b128 v231, v[188:191]
	ds_write_b128 v231, v[200:203] offset:1008
	ds_write_b128 v231, v[208:211] offset:2016
	;; [unrolled: 1-line block ×4, first 2 shown]
	s_waitcnt lgkmcnt(0)
	s_barrier
	buffer_gl0_inv
	global_load_dwordx4 v[188:191], v[233:234], off offset:1888
	v_add_co_u32 v192, s1, 0x3000, v220
	v_add_co_ci_u32_e64 v193, s1, 0, v221, s1
	v_add_co_u32 v216, s1, 0x4000, v220
	v_add_co_ci_u32_e64 v217, s1, 0, v221, s1
	global_load_dwordx4 v[192:195], v[192:193], off offset:1152
	ds_read_b128 v[200:203], v231
	ds_read_b128 v[208:211], v231 offset:1008
	global_load_dwordx4 v[196:199], v[216:217], off offset:416
	ds_read_b128 v[212:215], v231 offset:4368
	ds_read_b128 v[250:253], v231 offset:5376
	;; [unrolled: 1-line block ×3, first 2 shown]
	s_waitcnt vmcnt(2) lgkmcnt(4)
	v_mul_f64 v[204:205], v[202:203], v[190:191]
	v_mul_f64 v[190:191], v[200:201], v[190:191]
	v_fma_f64 v[200:201], v[200:201], v[188:189], -v[204:205]
	v_fma_f64 v[202:203], v[202:203], v[188:189], v[190:191]
	ds_read_b128 v[188:191], v231 offset:3360
	s_waitcnt vmcnt(1) lgkmcnt(0)
	v_mul_f64 v[204:205], v[190:191], v[194:195]
	v_mul_f64 v[194:195], v[188:189], v[194:195]
	v_fma_f64 v[204:205], v[188:189], v[192:193], -v[204:205]
	v_fma_f64 v[206:207], v[190:191], v[192:193], v[194:195]
	ds_read_b128 v[188:191], v231 offset:6720
	s_waitcnt vmcnt(0) lgkmcnt(0)
	v_mul_f64 v[192:193], v[190:191], v[198:199]
	v_mul_f64 v[194:195], v[188:189], v[198:199]
	v_fma_f64 v[192:193], v[188:189], v[196:197], -v[192:193]
	v_add_co_u32 v188, s1, 0x2760, v220
	v_add_co_ci_u32_e64 v189, s1, 0, v221, s1
	v_fma_f64 v[194:195], v[190:191], v[196:197], v[194:195]
	global_load_dwordx4 v[196:199], v[188:189], off offset:1008
	s_waitcnt vmcnt(0)
	v_mul_f64 v[190:191], v[210:211], v[198:199]
	v_mul_f64 v[198:199], v[208:209], v[198:199]
	v_fma_f64 v[208:209], v[208:209], v[196:197], -v[190:191]
	v_add_co_u32 v190, s1, 0x3800, v220
	v_add_co_ci_u32_e64 v191, s1, 0, v221, s1
	v_fma_f64 v[210:211], v[210:211], v[196:197], v[198:199]
	global_load_dwordx4 v[196:199], v[190:191], off offset:112
	s_waitcnt vmcnt(0)
	v_mul_f64 v[218:219], v[214:215], v[198:199]
	v_mul_f64 v[198:199], v[212:213], v[198:199]
	v_fma_f64 v[212:213], v[212:213], v[196:197], -v[218:219]
	v_fma_f64 v[214:215], v[214:215], v[196:197], v[198:199]
	global_load_dwordx4 v[196:199], v[216:217], off offset:1424
	ds_read_b128 v[216:219], v231 offset:7728
	s_waitcnt vmcnt(0) lgkmcnt(0)
	v_mul_f64 v[222:223], v[218:219], v[198:199]
	v_mul_f64 v[198:199], v[216:217], v[198:199]
	v_fma_f64 v[216:217], v[216:217], v[196:197], -v[222:223]
	v_fma_f64 v[218:219], v[218:219], v[196:197], v[198:199]
	global_load_dwordx4 v[196:199], v[188:189], off offset:2016
	s_waitcnt vmcnt(0)
	v_mul_f64 v[222:223], v[248:249], v[198:199]
	v_mul_f64 v[198:199], v[246:247], v[198:199]
	v_fma_f64 v[246:247], v[246:247], v[196:197], -v[222:223]
	v_fma_f64 v[248:249], v[248:249], v[196:197], v[198:199]
	global_load_dwordx4 v[196:199], v[190:191], off offset:1120
	s_waitcnt vmcnt(0)
	v_mul_f64 v[190:191], v[252:253], v[198:199]
	v_mul_f64 v[198:199], v[250:251], v[198:199]
	v_fma_f64 v[250:251], v[250:251], v[196:197], -v[190:191]
	v_add_co_u32 v190, s1, 0x4800, v220
	v_add_co_ci_u32_e64 v191, s1, 0, v221, s1
	v_fma_f64 v[252:253], v[252:253], v[196:197], v[198:199]
	ds_read_b128 v[220:223], v231 offset:8736
	global_load_dwordx4 v[196:199], v[190:191], off offset:384
	s_waitcnt vmcnt(0) lgkmcnt(0)
	v_mul_f64 v[190:191], v[222:223], v[198:199]
	v_mul_f64 v[198:199], v[220:221], v[198:199]
	v_fma_f64 v[220:221], v[220:221], v[196:197], -v[190:191]
	v_fma_f64 v[222:223], v[222:223], v[196:197], v[198:199]
	ds_write_b128 v231, v[200:203]
	ds_write_b128 v231, v[204:207] offset:3360
	ds_write_b128 v231, v[192:195] offset:6720
	;; [unrolled: 1-line block ×8, first 2 shown]
	s_and_saveexec_b32 s2, vcc_lo
	s_cbranch_execz .LBB0_17
; %bb.16:
	v_add_co_u32 v190, s1, 0x800, v188
	v_add_co_ci_u32_e64 v191, s1, 0, v189, s1
	v_add_co_u32 v192, s1, 0x1800, v188
	v_add_co_ci_u32_e64 v193, s1, 0, v189, s1
	;; [unrolled: 2-line block ×3, first 2 shown]
	s_clause 0x2
	global_load_dwordx4 v[188:191], v[190:191], off offset:976
	global_load_dwordx4 v[192:195], v[192:193], off offset:240
	global_load_dwordx4 v[196:199], v[196:197], off offset:1552
	ds_read_b128 v[200:203], v231 offset:3024
	ds_read_b128 v[204:207], v231 offset:6384
	;; [unrolled: 1-line block ×3, first 2 shown]
	s_waitcnt vmcnt(2) lgkmcnt(2)
	v_mul_f64 v[212:213], v[202:203], v[190:191]
	v_mul_f64 v[190:191], v[200:201], v[190:191]
	s_waitcnt vmcnt(1) lgkmcnt(1)
	v_mul_f64 v[214:215], v[206:207], v[194:195]
	v_mul_f64 v[194:195], v[204:205], v[194:195]
	;; [unrolled: 3-line block ×3, first 2 shown]
	v_fma_f64 v[198:199], v[200:201], v[188:189], -v[212:213]
	v_fma_f64 v[200:201], v[202:203], v[188:189], v[190:191]
	v_fma_f64 v[188:189], v[204:205], v[192:193], -v[214:215]
	v_fma_f64 v[190:191], v[206:207], v[192:193], v[194:195]
	;; [unrolled: 2-line block ×3, first 2 shown]
	ds_write_b128 v231, v[198:201] offset:3024
	ds_write_b128 v231, v[188:191] offset:6384
	;; [unrolled: 1-line block ×3, first 2 shown]
.LBB0_17:
	s_or_b32 exec_lo, exec_lo, s2
	s_waitcnt lgkmcnt(0)
	s_barrier
	buffer_gl0_inv
	ds_read_b128 v[212:215], v231
	ds_read_b128 v[200:203], v231 offset:1008
	ds_read_b128 v[216:219], v231 offset:6720
	;; [unrolled: 1-line block ×8, first 2 shown]
	s_and_saveexec_b32 s1, vcc_lo
	s_cbranch_execz .LBB0_19
; %bb.18:
	ds_read_b128 v[184:187], v231 offset:3024
	ds_read_b128 v[176:179], v231 offset:6384
	;; [unrolled: 1-line block ×3, first 2 shown]
.LBB0_19:
	s_or_b32 exec_lo, exec_lo, s1
	s_waitcnt lgkmcnt(4)
	v_add_f64 v[224:225], v[212:213], v[220:221]
	v_add_f64 v[226:227], v[222:223], -v[218:219]
	s_mov_b32 s2, 0xe8584caa
	s_mov_b32 s3, 0xbfebb67a
	;; [unrolled: 1-line block ×4, first 2 shown]
	s_waitcnt lgkmcnt(0)
	s_barrier
	buffer_gl0_inv
	v_add_f64 v[246:247], v[224:225], v[216:217]
	v_add_f64 v[224:225], v[220:221], v[216:217]
	v_add_f64 v[216:217], v[220:221], -v[216:217]
	v_add_f64 v[220:221], v[210:211], -v[206:207]
	v_fma_f64 v[224:225], v[224:225], -0.5, v[212:213]
	v_fma_f64 v[212:213], v[226:227], s[2:3], v[224:225]
	v_fma_f64 v[250:251], v[226:227], s[4:5], v[224:225]
	v_add_f64 v[224:225], v[214:215], v[222:223]
	v_add_f64 v[248:249], v[224:225], v[218:219]
	;; [unrolled: 1-line block ×3, first 2 shown]
	v_fma_f64 v[218:219], v[218:219], -0.5, v[214:215]
	v_fma_f64 v[214:215], v[216:217], s[4:5], v[218:219]
	v_fma_f64 v[252:253], v[216:217], s[2:3], v[218:219]
	v_add_f64 v[218:219], v[208:209], v[204:205]
	v_add_f64 v[216:217], v[200:201], v[208:209]
	v_fma_f64 v[218:219], v[218:219], -0.5, v[200:201]
	v_add_f64 v[216:217], v[216:217], v[204:205]
	v_add_f64 v[204:205], v[208:209], -v[204:205]
	v_fma_f64 v[200:201], v[220:221], s[2:3], v[218:219]
	v_fma_f64 v[220:221], v[220:221], s[4:5], v[218:219]
	v_add_f64 v[218:219], v[202:203], v[210:211]
	v_add_f64 v[218:219], v[218:219], v[206:207]
	v_add_f64 v[206:207], v[210:211], v[206:207]
	v_fma_f64 v[206:207], v[206:207], -0.5, v[202:203]
	v_fma_f64 v[202:203], v[204:205], s[4:5], v[206:207]
	v_fma_f64 v[222:223], v[204:205], s[2:3], v[206:207]
	v_add_f64 v[206:207], v[188:189], v[196:197]
	v_add_f64 v[204:205], v[192:193], v[188:189]
	v_add_f64 v[188:189], v[188:189], -v[196:197]
	v_fma_f64 v[192:193], v[206:207], -0.5, v[192:193]
	v_add_f64 v[206:207], v[190:191], -v[198:199]
	v_add_f64 v[204:205], v[204:205], v[196:197]
	v_fma_f64 v[208:209], v[206:207], s[2:3], v[192:193]
	v_fma_f64 v[224:225], v[206:207], s[4:5], v[192:193]
	v_add_f64 v[192:193], v[194:195], v[190:191]
	v_add_f64 v[190:191], v[190:191], v[198:199]
	;; [unrolled: 1-line block ×3, first 2 shown]
	v_fma_f64 v[190:191], v[190:191], -0.5, v[194:195]
	v_fma_f64 v[210:211], v[188:189], s[4:5], v[190:191]
	v_fma_f64 v[226:227], v[188:189], s[2:3], v[190:191]
	v_add_f64 v[190:191], v[176:177], v[180:181]
	v_add_f64 v[188:189], v[184:185], v[176:177]
	v_add_f64 v[176:177], v[176:177], -v[180:181]
	ds_write_b128 v237, v[246:249]
	ds_write_b128 v237, v[212:215] offset:16
	ds_write_b128 v237, v[250:253] offset:32
	ds_write_b128 v238, v[216:219]
	ds_write_b128 v238, v[200:203] offset:16
	ds_write_b128 v238, v[220:223] offset:32
	;; [unrolled: 3-line block ×3, first 2 shown]
	v_fma_f64 v[184:185], v[190:191], -0.5, v[184:185]
	v_add_f64 v[190:191], v[178:179], -v[182:183]
	v_add_f64 v[188:189], v[188:189], v[180:181]
	v_fma_f64 v[192:193], v[190:191], s[2:3], v[184:185]
	v_fma_f64 v[184:185], v[190:191], s[4:5], v[184:185]
	v_add_f64 v[190:191], v[186:187], v[178:179]
	v_add_f64 v[178:179], v[178:179], v[182:183]
	;; [unrolled: 1-line block ×3, first 2 shown]
	v_fma_f64 v[178:179], v[178:179], -0.5, v[186:187]
	v_fma_f64 v[194:195], v[176:177], s[4:5], v[178:179]
	v_fma_f64 v[186:187], v[176:177], s[2:3], v[178:179]
	s_and_saveexec_b32 s1, vcc_lo
	s_cbranch_execz .LBB0_21
; %bb.20:
	buffer_load_dword v176, off, s[36:39], 0 offset:4 ; 4-byte Folded Reload
	s_waitcnt vmcnt(0)
	v_lshlrev_b32_e32 v176, 4, v176
	ds_write_b128 v176, v[188:191]
	ds_write_b128 v176, v[192:195] offset:16
	ds_write_b128 v176, v[184:187] offset:32
.LBB0_21:
	s_or_b32 exec_lo, exec_lo, s1
	s_waitcnt lgkmcnt(0)
	s_barrier
	buffer_gl0_inv
	ds_read_b128 v[196:199], v231
	ds_read_b128 v[180:183], v231 offset:1008
	ds_read_b128 v[216:219], v231 offset:6720
	;; [unrolled: 1-line block ×8, first 2 shown]
	s_and_saveexec_b32 s1, vcc_lo
	s_cbranch_execz .LBB0_23
; %bb.22:
	ds_read_b128 v[188:191], v231 offset:3024
	ds_read_b128 v[192:195], v231 offset:6384
	;; [unrolled: 1-line block ×3, first 2 shown]
.LBB0_23:
	s_or_b32 exec_lo, exec_lo, s1
	s_waitcnt lgkmcnt(4)
	v_mul_f64 v[224:225], v[138:139], v[222:223]
	v_mul_f64 v[138:139], v[138:139], v[220:221]
	s_mov_b32 s4, s2
	s_waitcnt lgkmcnt(0)
	s_barrier
	buffer_gl0_inv
	v_fma_f64 v[224:225], v[136:137], v[220:221], v[224:225]
	v_fma_f64 v[136:137], v[136:137], v[222:223], -v[138:139]
	v_mul_f64 v[138:139], v[130:131], v[218:219]
	v_mul_f64 v[130:131], v[130:131], v[216:217]
	v_fma_f64 v[138:139], v[128:129], v[216:217], v[138:139]
	v_fma_f64 v[128:129], v[128:129], v[218:219], -v[130:131]
	v_mul_f64 v[130:131], v[126:127], v[214:215]
	v_mul_f64 v[126:127], v[126:127], v[212:213]
	;; [unrolled: 4-line block ×4, first 2 shown]
	v_add_f64 v[122:123], v[130:131], v[212:213]
	v_fma_f64 v[208:209], v[112:113], v[204:205], v[120:121]
	v_fma_f64 v[204:205], v[112:113], v[206:207], -v[114:115]
	v_mul_f64 v[112:113], v[94:95], v[202:203]
	v_mul_f64 v[94:95], v[94:95], v[200:201]
	v_add_f64 v[120:121], v[196:197], v[224:225]
	v_fma_f64 v[206:207], v[92:93], v[200:201], v[112:113]
	v_fma_f64 v[92:93], v[92:93], v[202:203], -v[94:95]
	v_mul_f64 v[94:95], v[102:103], v[194:195]
	v_add_f64 v[200:201], v[130:131], -v[212:213]
	v_add_f64 v[120:121], v[120:121], v[138:139]
	v_add_f64 v[202:203], v[204:205], -v[92:93]
	v_fma_f64 v[112:113], v[100:101], v[192:193], v[94:95]
	v_mul_f64 v[94:95], v[102:103], v[192:193]
	v_fma_f64 v[100:101], v[100:101], v[194:195], -v[94:95]
	v_mul_f64 v[94:95], v[78:79], v[186:187]
	v_mul_f64 v[78:79], v[78:79], v[184:185]
	v_fma_f64 v[102:103], v[76:77], v[184:185], v[94:95]
	v_fma_f64 v[114:115], v[76:77], v[186:187], -v[78:79]
	v_fma_f64 v[186:187], v[122:123], -0.5, v[180:181]
	v_add_f64 v[122:123], v[208:209], v[206:207]
	v_add_f64 v[76:77], v[224:225], v[138:139]
	;; [unrolled: 1-line block ×7, first 2 shown]
	v_fma_f64 v[194:195], v[122:123], -0.5, v[176:177]
	v_add_f64 v[122:123], v[204:205], v[92:93]
	v_fma_f64 v[76:77], v[76:77], -0.5, v[196:197]
	v_fma_f64 v[78:79], v[78:79], -0.5, v[198:199]
	;; [unrolled: 1-line block ×3, first 2 shown]
	v_add_f64 v[182:183], v[182:183], v[124:125]
	v_add_f64 v[176:177], v[176:177], v[208:209]
	v_add_f64 v[184:185], v[136:137], -v[128:129]
	v_add_f64 v[196:197], v[124:125], -v[126:127]
	v_add_f64 v[124:125], v[180:181], v[212:213]
	v_fma_f64 v[198:199], v[122:123], -0.5, v[178:179]
	v_add_f64 v[178:179], v[178:179], v[204:205]
	v_add_f64 v[122:123], v[94:95], v[128:129]
	v_add_f64 v[94:95], v[224:225], -v[138:139]
	v_add_f64 v[204:205], v[208:209], -v[206:207]
	v_add_f64 v[208:209], v[112:113], v[102:103]
	v_add_f64 v[126:127], v[182:183], v[126:127]
	;; [unrolled: 1-line block ×3, first 2 shown]
	v_fma_f64 v[136:137], v[184:185], s[2:3], v[76:77]
	v_fma_f64 v[176:177], v[184:185], s[4:5], v[76:77]
	;; [unrolled: 1-line block ×6, first 2 shown]
	v_add_f64 v[200:201], v[112:113], -v[102:103]
	v_fma_f64 v[192:193], v[202:203], s[2:3], v[194:195]
	v_fma_f64 v[196:197], v[202:203], s[4:5], v[194:195]
	v_add_f64 v[130:131], v[178:179], v[92:93]
	v_fma_f64 v[138:139], v[94:95], s[4:5], v[78:79]
	v_fma_f64 v[178:179], v[94:95], s[2:3], v[78:79]
	v_add_f64 v[78:79], v[100:101], -v[114:115]
	v_fma_f64 v[92:93], v[208:209], -0.5, v[188:189]
	v_fma_f64 v[94:95], v[210:211], -0.5, v[190:191]
	v_fma_f64 v[194:195], v[204:205], s[4:5], v[198:199]
	v_fma_f64 v[198:199], v[204:205], s[2:3], v[198:199]
	ds_write_b128 v242, v[120:123]
	ds_write_b128 v242, v[136:139] offset:48
	ds_write_b128 v242, v[176:179] offset:96
	ds_write_b128 v241, v[124:127]
	ds_write_b128 v241, v[180:183] offset:48
	ds_write_b128 v241, v[184:187] offset:96
	;; [unrolled: 3-line block ×3, first 2 shown]
	v_fma_f64 v[76:77], v[78:79], s[2:3], v[92:93]
	v_fma_f64 v[92:93], v[78:79], s[4:5], v[92:93]
	;; [unrolled: 1-line block ×4, first 2 shown]
	s_and_saveexec_b32 s1, vcc_lo
	s_cbranch_execz .LBB0_25
; %bb.24:
	v_add_f64 v[100:101], v[190:191], v[100:101]
	v_add_f64 v[112:113], v[188:189], v[112:113]
	;; [unrolled: 1-line block ×3, first 2 shown]
	buffer_load_dword v101, off, s[36:39], 0 ; 4-byte Folded Reload
	v_add_f64 v[112:113], v[112:113], v[102:103]
	v_mov_b32_e32 v100, 9
	v_mul_u32_u24_sdwa v100, v239, v100 dst_sel:DWORD dst_unused:UNUSED_PAD src0_sel:WORD_0 src1_sel:DWORD
	s_waitcnt vmcnt(0)
	v_add_lshl_u32 v100, v100, v101, 4
	ds_write_b128 v100, v[76:79] offset:48
	ds_write_b128 v100, v[112:115]
	ds_write_b128 v100, v[92:95] offset:96
.LBB0_25:
	s_or_b32 exec_lo, exec_lo, s1
	s_waitcnt lgkmcnt(0)
	s_barrier
	buffer_gl0_inv
	ds_read_b128 v[100:103], v231 offset:2016
	ds_read_b128 v[112:115], v231 offset:4032
	;; [unrolled: 1-line block ×8, first 2 shown]
	s_mov_b32 s4, 0x134454ff
	s_mov_b32 s5, 0xbfee6f0e
	;; [unrolled: 1-line block ×8, first 2 shown]
	s_waitcnt lgkmcnt(7)
	v_mul_f64 v[184:185], v[86:87], v[102:103]
	v_mul_f64 v[86:87], v[86:87], v[100:101]
	s_waitcnt lgkmcnt(6)
	v_mul_f64 v[186:187], v[82:83], v[114:115]
	v_mul_f64 v[82:83], v[82:83], v[112:113]
	s_waitcnt lgkmcnt(5)
	v_mul_f64 v[188:189], v[74:75], v[122:123]
	s_waitcnt lgkmcnt(4)
	v_mul_f64 v[190:191], v[70:71], v[124:125]
	v_mul_f64 v[74:75], v[74:75], v[120:121]
	;; [unrolled: 1-line block ×3, first 2 shown]
	s_waitcnt lgkmcnt(3)
	v_mul_f64 v[194:195], v[66:67], v[130:131]
	v_mul_f64 v[66:67], v[66:67], v[128:129]
	s_waitcnt lgkmcnt(2)
	v_mul_f64 v[196:197], v[58:59], v[138:139]
	v_mul_f64 v[58:59], v[58:59], v[136:137]
	s_waitcnt lgkmcnt(1)
	v_mul_f64 v[198:199], v[54:55], v[178:179]
	v_mul_f64 v[54:55], v[54:55], v[176:177]
	s_waitcnt lgkmcnt(0)
	v_mul_f64 v[200:201], v[50:51], v[182:183]
	v_mul_f64 v[50:51], v[50:51], v[180:181]
	v_fma_f64 v[100:101], v[84:85], v[100:101], v[184:185]
	v_fma_f64 v[84:85], v[84:85], v[102:103], -v[86:87]
	v_fma_f64 v[86:87], v[80:81], v[112:113], v[186:187]
	v_fma_f64 v[102:103], v[80:81], v[114:115], -v[82:83]
	;; [unrolled: 2-line block ×3, first 2 shown]
	v_fma_f64 v[74:75], v[72:73], v[122:123], -v[74:75]
	v_fma_f64 v[68:69], v[68:69], v[124:125], v[192:193]
	v_fma_f64 v[120:121], v[64:65], v[128:129], v[194:195]
	v_fma_f64 v[64:65], v[64:65], v[130:131], -v[66:67]
	v_fma_f64 v[66:67], v[56:57], v[136:137], v[196:197]
	v_fma_f64 v[56:57], v[56:57], v[138:139], -v[58:59]
	;; [unrolled: 2-line block ×4, first 2 shown]
	ds_read_b128 v[80:83], v231
	ds_read_b128 v[70:73], v231 offset:1008
	s_waitcnt lgkmcnt(0)
	s_barrier
	buffer_gl0_inv
	v_add_f64 v[128:129], v[100:101], -v[86:87]
	v_add_f64 v[138:139], v[86:87], -v[100:101]
	v_add_f64 v[54:55], v[86:87], v[112:113]
	v_add_f64 v[186:187], v[84:85], v[114:115]
	;; [unrolled: 1-line block ×4, first 2 shown]
	v_add_f64 v[130:131], v[68:69], -v[112:113]
	v_add_f64 v[124:125], v[84:85], -v[114:115]
	;; [unrolled: 1-line block ×4, first 2 shown]
	v_add_f64 v[190:191], v[66:67], v[122:123]
	v_add_f64 v[200:201], v[56:57], v[52:53]
	v_add_f64 v[48:49], v[80:81], v[100:101]
	v_add_f64 v[194:195], v[120:121], v[58:59]
	v_add_f64 v[202:203], v[64:65], v[50:51]
	v_add_f64 v[178:179], v[82:83], v[84:85]
	v_add_f64 v[100:101], v[100:101], -v[68:69]
	v_add_f64 v[184:185], v[84:85], -v[102:103]
	;; [unrolled: 1-line block ×6, first 2 shown]
	v_add_f64 v[196:197], v[70:71], v[120:121]
	v_add_f64 v[214:215], v[72:73], v[64:65]
	v_fma_f64 v[54:55], v[54:55], -0.5, v[80:81]
	v_add_f64 v[198:199], v[64:65], -v[50:51]
	v_fma_f64 v[180:181], v[180:181], -0.5, v[82:83]
	v_fma_f64 v[80:81], v[136:137], -0.5, v[80:81]
	;; [unrolled: 1-line block ×3, first 2 shown]
	v_add_f64 v[206:207], v[120:121], -v[66:67]
	v_add_f64 v[210:211], v[66:67], -v[120:121]
	v_add_f64 v[120:121], v[120:121], -v[58:59]
	v_fma_f64 v[190:191], v[190:191], -0.5, v[70:71]
	v_add_f64 v[204:205], v[56:57], -v[52:53]
	v_add_f64 v[48:49], v[48:49], v[86:87]
	v_add_f64 v[86:87], v[128:129], v[130:131]
	v_fma_f64 v[128:129], v[200:201], -0.5, v[72:73]
	v_add_f64 v[208:209], v[58:59], -v[122:123]
	v_add_f64 v[136:137], v[66:67], -v[122:123]
	v_fma_f64 v[70:71], v[194:195], -0.5, v[70:71]
	v_fma_f64 v[72:73], v[202:203], -0.5, v[72:73]
	v_add_f64 v[102:103], v[178:179], v[102:103]
	v_add_f64 v[130:131], v[138:139], v[176:177]
	;; [unrolled: 1-line block ×4, first 2 shown]
	v_add_f64 v[216:217], v[64:65], -v[56:57]
	v_fma_f64 v[84:85], v[124:125], s[4:5], v[54:55]
	v_fma_f64 v[54:55], v[124:125], s[14:15], v[54:55]
	;; [unrolled: 1-line block ×8, first 2 shown]
	v_add_f64 v[64:65], v[56:57], -v[64:65]
	v_add_f64 v[66:67], v[196:197], v[66:67]
	v_add_f64 v[56:57], v[214:215], v[56:57]
	v_add_f64 v[186:187], v[50:51], -v[52:53]
	v_fma_f64 v[196:197], v[198:199], s[4:5], v[190:191]
	v_fma_f64 v[202:203], v[120:121], s[14:15], v[128:129]
	v_add_f64 v[212:213], v[122:123], -v[58:59]
	v_add_f64 v[218:219], v[52:53], -v[50:51]
	v_add_f64 v[178:179], v[206:207], v[208:209]
	v_fma_f64 v[190:191], v[198:199], s[14:15], v[190:191]
	v_fma_f64 v[200:201], v[204:205], s[14:15], v[70:71]
	;; [unrolled: 1-line block ×6, first 2 shown]
	v_add_f64 v[48:49], v[48:49], v[112:113]
	v_add_f64 v[74:75], v[102:103], v[74:75]
	v_fma_f64 v[84:85], v[126:127], s[2:3], v[84:85]
	v_fma_f64 v[102:103], v[124:125], s[2:3], v[184:185]
	v_fma_f64 v[112:113], v[124:125], s[12:13], v[80:81]
	v_fma_f64 v[124:125], v[182:183], s[12:13], v[188:189]
	v_fma_f64 v[54:55], v[126:127], s[12:13], v[54:55]
	v_fma_f64 v[126:127], v[182:183], s[2:3], v[180:181]
	v_fma_f64 v[180:181], v[100:101], s[12:13], v[192:193]
	v_fma_f64 v[100:101], v[100:101], s[2:3], v[82:83]
	v_add_f64 v[122:123], v[66:67], v[122:123]
	v_add_f64 v[192:193], v[56:57], v[52:53]
	;; [unrolled: 1-line block ×3, first 2 shown]
	v_fma_f64 v[182:183], v[204:205], s[2:3], v[196:197]
	v_fma_f64 v[196:197], v[136:137], s[12:13], v[202:203]
	v_add_f64 v[194:195], v[210:211], v[212:213]
	v_add_f64 v[208:209], v[64:65], v[218:219]
	v_fma_f64 v[184:185], v[204:205], s[12:13], v[190:191]
	v_fma_f64 v[188:189], v[198:199], s[2:3], v[200:201]
	;; [unrolled: 1-line block ×6, first 2 shown]
	s_mov_b32 s2, 0x372fe950
	s_mov_b32 s3, 0x3fd3c6ef
	v_add_f64 v[64:65], v[48:49], v[68:69]
	v_add_f64 v[66:67], v[74:75], v[114:115]
	v_fma_f64 v[68:69], v[86:87], s[2:3], v[84:85]
	v_fma_f64 v[70:71], v[138:139], s[2:3], v[124:125]
	v_fma_f64 v[80:81], v[130:131], s[2:3], v[102:103]
	v_fma_f64 v[82:83], v[176:177], s[2:3], v[180:181]
	v_fma_f64 v[72:73], v[86:87], s[2:3], v[54:55]
	v_fma_f64 v[84:85], v[130:131], s[2:3], v[112:113]
	v_fma_f64 v[86:87], v[176:177], s[2:3], v[100:101]
	v_fma_f64 v[74:75], v[138:139], s[2:3], v[126:127]
	v_add_f64 v[100:101], v[122:123], v[58:59]
	v_add_f64 v[102:103], v[192:193], v[50:51]
	v_fma_f64 v[112:113], v[178:179], s[2:3], v[182:183]
	v_fma_f64 v[114:115], v[186:187], s[2:3], v[196:197]
	;; [unrolled: 1-line block ×8, first 2 shown]
	ds_write_b128 v244, v[64:67]
	ds_write_b128 v244, v[68:71] offset:144
	ds_write_b128 v244, v[80:83] offset:288
	;; [unrolled: 1-line block ×4, first 2 shown]
	ds_write_b128 v243, v[100:103]
	ds_write_b128 v243, v[112:115] offset:144
	ds_write_b128 v243, v[48:51] offset:288
	;; [unrolled: 1-line block ×4, first 2 shown]
	s_waitcnt lgkmcnt(0)
	s_barrier
	buffer_gl0_inv
	ds_read_b128 v[64:67], v231
	ds_read_b128 v[100:103], v231 offset:1440
	ds_read_b128 v[84:87], v231 offset:2880
	;; [unrolled: 1-line block ×6, first 2 shown]
	s_and_saveexec_b32 s1, s0
	s_cbranch_execz .LBB0_27
; %bb.26:
	ds_read_b128 v[48:51], v231 offset:1008
	ds_read_b128 v[52:55], v231 offset:2448
	;; [unrolled: 1-line block ×7, first 2 shown]
.LBB0_27:
	s_or_b32 exec_lo, exec_lo, s1
	s_waitcnt lgkmcnt(5)
	v_mul_f64 v[120:121], v[90:91], v[102:103]
	v_mul_f64 v[90:91], v[90:91], v[100:101]
	s_waitcnt lgkmcnt(4)
	v_mul_f64 v[122:123], v[98:99], v[86:87]
	v_mul_f64 v[98:99], v[98:99], v[84:85]
	;; [unrolled: 3-line block ×3, first 2 shown]
	v_mul_f64 v[128:129], v[134:135], v[82:83]
	v_mul_f64 v[130:131], v[134:135], v[80:81]
	;; [unrolled: 1-line block ×6, first 2 shown]
	s_mov_b32 s12, 0x37e14327
	s_mov_b32 s16, 0xe976ee23
	;; [unrolled: 1-line block ×10, first 2 shown]
	v_fma_f64 v[100:101], v[88:89], v[100:101], v[120:121]
	v_fma_f64 v[88:89], v[88:89], v[102:103], -v[90:91]
	v_fma_f64 v[84:85], v[96:97], v[84:85], v[122:123]
	v_fma_f64 v[86:87], v[96:97], v[86:87], -v[98:99]
	;; [unrolled: 2-line block ×6, first 2 shown]
	s_mov_b32 s15, 0xbff2aaaa
	s_mov_b32 s23, 0xbfd5d0dc
	;; [unrolled: 1-line block ×8, first 2 shown]
	s_barrier
	buffer_gl0_inv
	v_add_f64 v[98:99], v[100:101], v[90:91]
	v_add_f64 v[102:103], v[88:89], v[96:97]
	;; [unrolled: 1-line block ×4, first 2 shown]
	v_add_f64 v[80:81], v[84:85], -v[80:81]
	v_add_f64 v[82:83], v[86:87], -v[82:83]
	v_add_f64 v[84:85], v[72:73], v[68:69]
	v_add_f64 v[86:87], v[74:75], v[70:71]
	v_add_f64 v[68:69], v[68:69], -v[72:73]
	v_add_f64 v[70:71], v[70:71], -v[74:75]
	;; [unrolled: 1-line block ×4, first 2 shown]
	v_add_f64 v[88:89], v[104:105], v[98:99]
	v_add_f64 v[90:91], v[106:107], v[102:103]
	v_add_f64 v[96:97], v[98:99], -v[84:85]
	v_add_f64 v[100:101], v[102:103], -v[86:87]
	;; [unrolled: 1-line block ×6, first 2 shown]
	v_add_f64 v[80:81], v[68:69], v[80:81]
	v_add_f64 v[82:83], v[70:71], v[82:83]
	v_add_f64 v[68:69], v[72:73], -v[68:69]
	v_add_f64 v[70:71], v[74:75], -v[70:71]
	;; [unrolled: 1-line block ×4, first 2 shown]
	v_add_f64 v[88:89], v[84:85], v[88:89]
	v_add_f64 v[90:91], v[86:87], v[90:91]
	v_add_f64 v[84:85], v[84:85], -v[104:105]
	v_add_f64 v[86:87], v[86:87], -v[106:107]
	v_mul_f64 v[96:97], v[96:97], s[12:13]
	v_mul_f64 v[100:101], v[100:101], s[12:13]
	;; [unrolled: 1-line block ×6, first 2 shown]
	v_add_f64 v[72:73], v[80:81], v[72:73]
	v_add_f64 v[74:75], v[82:83], v[74:75]
	;; [unrolled: 1-line block ×4, first 2 shown]
	v_mul_f64 v[104:105], v[84:85], s[4:5]
	v_mul_f64 v[106:107], v[86:87], s[4:5]
	v_fma_f64 v[80:81], v[84:85], s[4:5], v[96:97]
	v_fma_f64 v[82:83], v[86:87], s[4:5], v[100:101]
	v_fma_f64 v[84:85], v[68:69], s[22:23], v[112:113]
	v_fma_f64 v[86:87], v[70:71], s[22:23], v[114:115]
	v_fma_f64 v[112:113], v[116:117], s[2:3], -v[112:113]
	v_fma_f64 v[114:115], v[118:119], s[2:3], -v[114:115]
	;; [unrolled: 1-line block ×6, first 2 shown]
	v_fma_f64 v[88:89], v[88:89], s[14:15], v[64:65]
	v_fma_f64 v[90:91], v[90:91], s[14:15], v[66:67]
	v_fma_f64 v[98:99], v[98:99], s[18:19], -v[104:105]
	v_fma_f64 v[102:103], v[102:103], s[18:19], -v[106:107]
	v_fma_f64 v[104:105], v[72:73], s[26:27], v[84:85]
	v_fma_f64 v[106:107], v[74:75], s[26:27], v[86:87]
	;; [unrolled: 1-line block ×6, first 2 shown]
	v_add_f64 v[116:117], v[80:81], v[88:89]
	v_add_f64 v[118:119], v[82:83], v[90:91]
	;; [unrolled: 1-line block ×7, first 2 shown]
	v_add_f64 v[70:71], v[118:119], -v[104:105]
	v_add_f64 v[72:73], v[114:115], v[96:97]
	v_add_f64 v[74:75], v[100:101], -v[112:113]
	v_add_f64 v[80:81], v[88:89], -v[84:85]
	v_add_f64 v[82:83], v[86:87], v[90:91]
	v_add_f64 v[84:85], v[84:85], v[88:89]
	v_add_f64 v[86:87], v[90:91], -v[86:87]
	v_add_f64 v[88:89], v[96:97], -v[114:115]
	v_add_f64 v[90:91], v[112:113], v[100:101]
	v_add_f64 v[96:97], v[116:117], -v[106:107]
	v_add_f64 v[98:99], v[104:105], v[118:119]
	ds_write_b128 v245, v[64:67]
	ds_write_b128 v245, v[68:71] offset:720
	ds_write_b128 v245, v[72:75] offset:1440
	;; [unrolled: 1-line block ×6, first 2 shown]
	s_and_saveexec_b32 s1, s0
	s_cbranch_execz .LBB0_29
; %bb.28:
	v_mul_f64 v[64:65], v[146:147], v[172:173]
	v_mul_f64 v[66:67], v[38:39], v[52:53]
	;; [unrolled: 1-line block ×12, first 2 shown]
	v_fma_f64 v[64:65], v[144:145], v[174:175], -v[64:65]
	v_fma_f64 v[54:55], v[36:37], v[54:55], -v[66:67]
	;; [unrolled: 1-line block ×4, first 2 shown]
	v_fma_f64 v[36:37], v[36:37], v[52:53], v[38:39]
	v_fma_f64 v[38:39], v[144:145], v[172:173], v[72:73]
	;; [unrolled: 1-line block ×6, first 2 shown]
	v_fma_f64 v[44:45], v[44:45], v[78:79], -v[46:47]
	v_fma_f64 v[46:47], v[60:61], v[94:95], -v[62:63]
	v_add_f64 v[60:61], v[54:55], v[64:65]
	v_add_f64 v[62:63], v[58:59], v[66:67]
	;; [unrolled: 1-line block ×4, first 2 shown]
	v_add_f64 v[40:41], v[40:41], -v[42:43]
	v_add_f64 v[72:73], v[52:53], -v[56:57]
	v_add_f64 v[52:53], v[56:57], v[52:53]
	v_add_f64 v[42:43], v[44:45], v[46:47]
	v_add_f64 v[56:57], v[36:37], -v[38:39]
	v_add_f64 v[38:39], v[46:47], -v[44:45]
	;; [unrolled: 1-line block ×4, first 2 shown]
	v_add_f64 v[36:37], v[62:63], v[60:61]
	v_add_f64 v[54:55], v[70:71], v[68:69]
	v_add_f64 v[58:59], v[72:73], -v[40:41]
	v_add_f64 v[66:67], v[68:69], -v[52:53]
	;; [unrolled: 1-line block ×5, first 2 shown]
	v_add_f64 v[40:41], v[72:73], v[40:41]
	v_add_f64 v[78:79], v[44:45], -v[46:47]
	v_add_f64 v[82:83], v[46:47], -v[38:39]
	v_add_f64 v[76:77], v[42:43], v[36:37]
	v_add_f64 v[42:43], v[42:43], -v[62:63]
	v_add_f64 v[36:37], v[38:39], -v[44:45]
	v_add_f64 v[44:45], v[38:39], v[44:45]
	v_add_f64 v[54:55], v[52:53], v[54:55]
	v_add_f64 v[52:53], v[52:53], -v[70:71]
	v_mul_f64 v[58:59], v[58:59], s[16:17]
	v_mul_f64 v[66:67], v[66:67], s[12:13]
	;; [unrolled: 1-line block ×4, first 2 shown]
	v_add_f64 v[40:41], v[40:41], v[56:57]
	v_mul_f64 v[84:85], v[78:79], s[2:3]
	v_add_f64 v[38:39], v[50:51], v[76:77]
	v_add_f64 v[50:51], v[62:63], -v[60:61]
	v_mul_f64 v[60:61], v[42:43], s[4:5]
	v_mul_f64 v[62:63], v[36:37], s[16:17]
	v_add_f64 v[36:37], v[48:49], v[54:55]
	v_add_f64 v[48:49], v[70:71], -v[68:69]
	v_mul_f64 v[68:69], v[52:53], s[4:5]
	v_add_f64 v[44:45], v[44:45], v[46:47]
	v_fma_f64 v[46:47], v[80:81], s[22:23], v[58:59]
	v_fma_f64 v[42:43], v[42:43], s[4:5], v[64:65]
	;; [unrolled: 1-line block ×3, first 2 shown]
	v_fma_f64 v[56:57], v[80:81], s[24:25], -v[72:73]
	v_fma_f64 v[58:59], v[74:75], s[2:3], -v[58:59]
	v_fma_f64 v[72:73], v[82:83], s[24:25], -v[84:85]
	v_fma_f64 v[70:71], v[76:77], s[14:15], v[38:39]
	v_fma_f64 v[64:65], v[50:51], s[20:21], -v[64:65]
	v_fma_f64 v[50:51], v[50:51], s[18:19], -v[60:61]
	v_fma_f64 v[60:61], v[82:83], s[22:23], v[62:63]
	v_fma_f64 v[54:55], v[54:55], s[14:15], v[36:37]
	v_fma_f64 v[66:67], v[48:49], s[20:21], -v[66:67]
	v_fma_f64 v[62:63], v[78:79], s[2:3], -v[62:63]
	;; [unrolled: 1-line block ×3, first 2 shown]
	v_fma_f64 v[68:69], v[40:41], s[26:27], v[46:47]
	v_fma_f64 v[56:57], v[40:41], s[26:27], v[56:57]
	;; [unrolled: 1-line block ×4, first 2 shown]
	v_add_f64 v[74:75], v[42:43], v[70:71]
	v_add_f64 v[58:59], v[64:65], v[70:71]
	;; [unrolled: 1-line block ×3, first 2 shown]
	v_fma_f64 v[70:71], v[44:45], s[26:27], v[60:61]
	v_add_f64 v[76:77], v[52:53], v[54:55]
	v_add_f64 v[66:67], v[66:67], v[54:55]
	v_fma_f64 v[44:45], v[44:45], s[26:27], v[62:63]
	v_add_f64 v[48:49], v[48:49], v[54:55]
	v_add_f64 v[62:63], v[74:75], -v[68:69]
	v_add_f64 v[46:47], v[56:57], v[58:59]
	v_add_f64 v[58:59], v[58:59], -v[56:57]
	v_add_f64 v[54:55], v[40:41], v[64:65]
	v_add_f64 v[60:61], v[70:71], v[76:77]
	;; [unrolled: 1-line block ×3, first 2 shown]
	v_add_f64 v[50:51], v[64:65], -v[40:41]
	v_add_f64 v[52:53], v[48:49], -v[44:45]
	v_add_f64 v[48:49], v[44:45], v[48:49]
	v_add_f64 v[44:45], v[66:67], -v[72:73]
	v_add_f64 v[42:43], v[68:69], v[74:75]
	v_add_f64 v[40:41], v[76:77], -v[70:71]
	v_mov_b32_e32 v64, 4
	v_lshlrev_b32_sdwa v64, v64, v235 dst_sel:DWORD dst_unused:UNUSED_PAD src0_sel:DWORD src1_sel:BYTE_0
	ds_write_b128 v64, v[36:39] offset:5040
	ds_write_b128 v64, v[60:63] offset:5760
	;; [unrolled: 1-line block ×7, first 2 shown]
.LBB0_29:
	s_or_b32 exec_lo, exec_lo, s1
	s_waitcnt lgkmcnt(0)
	s_barrier
	buffer_gl0_inv
	ds_read_b128 v[36:39], v231 offset:5040
	ds_read_b128 v[40:43], v231 offset:6048
	;; [unrolled: 1-line block ×6, first 2 shown]
	ds_read_b128 v[60:63], v231
	ds_read_b128 v[64:67], v231 offset:1008
	ds_read_b128 v[68:71], v231 offset:2016
	;; [unrolled: 1-line block ×3, first 2 shown]
	v_mad_u64_u32 v[96:97], null, s10, v230, 0
	s_mul_i32 s1, s9, 0xd2
	s_mul_hi_u32 s4, s8, 0xd2
	s_mul_i32 s0, s8, 0xd2
	s_mul_hi_u32 s5, s8, 0xfffffe9b
	s_add_i32 s1, s4, s1
	s_mul_i32 s10, s8, 0xfffffe9b
	s_mov_b32 s2, 0x1a01a01a
	s_mov_b32 s3, 0x3f5a01a0
	s_waitcnt lgkmcnt(9)
	v_mul_f64 v[76:77], v[150:151], v[38:39]
	v_mul_f64 v[78:79], v[150:151], v[36:37]
	s_waitcnt lgkmcnt(8)
	v_mul_f64 v[80:81], v[154:155], v[42:43]
	v_mul_f64 v[82:83], v[154:155], v[40:41]
	;; [unrolled: 3-line block ×5, first 2 shown]
	v_fma_f64 v[36:37], v[148:149], v[36:37], v[76:77]
	v_fma_f64 v[38:39], v[148:149], v[38:39], -v[78:79]
	v_fma_f64 v[40:41], v[152:153], v[40:41], v[80:81]
	v_fma_f64 v[42:43], v[152:153], v[42:43], -v[82:83]
	;; [unrolled: 2-line block ×5, first 2 shown]
	v_mov_b32_e32 v78, v97
	v_mad_u64_u32 v[76:77], null, s8, v232, 0
	s_sub_i32 s8, s5, s8
	s_lshl_b64 s[4:5], s[0:1], 4
	v_mad_u64_u32 v[78:79], null, s11, v230, v[78:79]
	s_waitcnt lgkmcnt(3)
	v_add_f64 v[36:37], v[60:61], -v[36:37]
	v_add_f64 v[38:39], v[62:63], -v[38:39]
	s_waitcnt lgkmcnt(2)
	v_add_f64 v[40:41], v[64:65], -v[40:41]
	v_add_f64 v[42:43], v[66:67], -v[42:43]
	;; [unrolled: 3-line block ×4, first 2 shown]
	v_add_f64 v[52:53], v[56:57], -v[52:53]
	v_add_f64 v[54:55], v[58:59], -v[54:55]
	v_mad_u64_u32 v[79:80], null, s9, v232, v[77:78]
	v_mov_b32_e32 v97, v78
	s_mulk_i32 s9, 0xfe9b
	s_add_i32 s11, s8, s9
	v_mov_b32_e32 v77, v79
	v_lshlrev_b64 v[78:79], 4, v[96:97]
	v_fma_f64 v[60:61], v[60:61], 2.0, -v[36:37]
	v_fma_f64 v[62:63], v[62:63], 2.0, -v[38:39]
	;; [unrolled: 1-line block ×10, first 2 shown]
	v_lshlrev_b64 v[76:77], 4, v[76:77]
	v_add_co_u32 v78, s0, s6, v78
	v_add_co_ci_u32_e64 v79, s0, s7, v79, s0
	ds_write_b128 v231, v[36:39] offset:5040
	ds_write_b128 v231, v[40:43] offset:6048
	;; [unrolled: 1-line block ×5, first 2 shown]
	ds_write_b128 v231, v[60:63]
	ds_write_b128 v231, v[64:67] offset:1008
	ds_write_b128 v231, v[68:71] offset:2016
	;; [unrolled: 1-line block ×4, first 2 shown]
	s_waitcnt lgkmcnt(0)
	s_barrier
	buffer_gl0_inv
	ds_read_b128 v[36:39], v231
	ds_read_b128 v[40:43], v231 offset:3360
	ds_read_b128 v[44:47], v231 offset:6720
	;; [unrolled: 1-line block ×8, first 2 shown]
	v_add_co_u32 v76, s0, v78, v76
	v_add_co_ci_u32_e64 v77, s0, v79, v77, s0
	s_lshl_b64 s[6:7], s[10:11], 4
	v_add_co_u32 v72, s0, v76, s4
	v_add_co_ci_u32_e64 v73, s0, s5, v77, s0
	v_add_co_u32 v74, s0, v72, s4
	v_add_co_ci_u32_e64 v75, s0, s5, v73, s0
	s_waitcnt lgkmcnt(8)
	v_mul_f64 v[80:81], v[2:3], v[38:39]
	v_mul_f64 v[2:3], v[2:3], v[36:37]
	s_waitcnt lgkmcnt(7)
	v_mul_f64 v[82:83], v[22:23], v[42:43]
	v_mul_f64 v[22:23], v[22:23], v[40:41]
	;; [unrolled: 3-line block ×9, first 2 shown]
	v_add_co_u32 v78, s0, v74, s6
	v_add_co_ci_u32_e64 v79, s0, s7, v75, s0
	v_fma_f64 v[36:37], v[0:1], v[36:37], v[80:81]
	v_fma_f64 v[2:3], v[0:1], v[38:39], -v[2:3]
	v_fma_f64 v[38:39], v[20:21], v[40:41], v[82:83]
	v_fma_f64 v[20:21], v[20:21], v[42:43], -v[22:23]
	;; [unrolled: 2-line block ×9, first 2 shown]
	v_add_co_u32 v98, s0, v78, s4
	v_add_co_ci_u32_e64 v99, s0, s5, v79, s0
	v_mul_f64 v[0:1], v[36:37], s[2:3]
	v_mul_f64 v[2:3], v[2:3], s[2:3]
	;; [unrolled: 1-line block ×8, first 2 shown]
	v_add_co_u32 v54, s0, v98, s4
	v_mul_f64 v[16:17], v[42:43], s[2:3]
	v_mul_f64 v[18:19], v[44:45], s[2:3]
	;; [unrolled: 1-line block ×4, first 2 shown]
	v_add_co_ci_u32_e64 v55, s0, s5, v99, s0
	v_mul_f64 v[24:25], v[26:27], s[2:3]
	v_mul_f64 v[26:27], v[48:49], s[2:3]
	;; [unrolled: 1-line block ×6, first 2 shown]
	v_add_co_u32 v36, s0, v54, s6
	v_add_co_ci_u32_e64 v37, s0, s7, v55, s0
	global_store_dwordx4 v[76:77], v[0:3], off
	global_store_dwordx4 v[72:73], v[4:7], off
	;; [unrolled: 1-line block ×4, first 2 shown]
	v_add_co_u32 v38, s0, v36, s4
	v_add_co_ci_u32_e64 v39, s0, s5, v37, s0
	v_add_co_u32 v0, s0, v38, s4
	v_add_co_ci_u32_e64 v1, s0, s5, v39, s0
	global_store_dwordx4 v[98:99], v[16:19], off
	global_store_dwordx4 v[54:55], v[20:23], off
	;; [unrolled: 1-line block ×5, first 2 shown]
	s_and_b32 exec_lo, exec_lo, vcc_lo
	s_cbranch_execz .LBB0_31
; %bb.30:
	s_clause 0x2
	global_load_dwordx4 v[2:5], v[228:229], off offset:976
	global_load_dwordx4 v[6:9], v[254:255], off offset:240
	;; [unrolled: 1-line block ×3, first 2 shown]
	ds_read_b128 v[14:17], v231 offset:3024
	ds_read_b128 v[18:21], v231 offset:6384
	;; [unrolled: 1-line block ×3, first 2 shown]
	v_add_co_u32 v0, vcc_lo, v0, s6
	v_add_co_ci_u32_e32 v1, vcc_lo, s7, v1, vcc_lo
	s_waitcnt vmcnt(2) lgkmcnt(2)
	v_mul_f64 v[26:27], v[16:17], v[4:5]
	v_mul_f64 v[4:5], v[14:15], v[4:5]
	s_waitcnt vmcnt(1) lgkmcnt(1)
	v_mul_f64 v[28:29], v[20:21], v[8:9]
	v_mul_f64 v[8:9], v[18:19], v[8:9]
	;; [unrolled: 3-line block ×3, first 2 shown]
	v_fma_f64 v[14:15], v[14:15], v[2:3], v[26:27]
	v_fma_f64 v[4:5], v[2:3], v[16:17], -v[4:5]
	v_fma_f64 v[16:17], v[18:19], v[6:7], v[28:29]
	v_fma_f64 v[8:9], v[6:7], v[20:21], -v[8:9]
	;; [unrolled: 2-line block ×3, first 2 shown]
	v_mul_f64 v[2:3], v[14:15], s[2:3]
	v_mul_f64 v[4:5], v[4:5], s[2:3]
	;; [unrolled: 1-line block ×6, first 2 shown]
	v_add_co_u32 v14, vcc_lo, v0, s4
	v_add_co_ci_u32_e32 v15, vcc_lo, s5, v1, vcc_lo
	v_add_co_u32 v16, vcc_lo, v14, s4
	v_add_co_ci_u32_e32 v17, vcc_lo, s5, v15, vcc_lo
	global_store_dwordx4 v[0:1], v[2:5], off
	global_store_dwordx4 v[14:15], v[6:9], off
	;; [unrolled: 1-line block ×3, first 2 shown]
.LBB0_31:
	s_endpgm
	.section	.rodata,"a",@progbits
	.p2align	6, 0x0
	.amdhsa_kernel bluestein_single_back_len630_dim1_dp_op_CI_CI
		.amdhsa_group_segment_fixed_size 10080
		.amdhsa_private_segment_fixed_size 12
		.amdhsa_kernarg_size 104
		.amdhsa_user_sgpr_count 6
		.amdhsa_user_sgpr_private_segment_buffer 1
		.amdhsa_user_sgpr_dispatch_ptr 0
		.amdhsa_user_sgpr_queue_ptr 0
		.amdhsa_user_sgpr_kernarg_segment_ptr 1
		.amdhsa_user_sgpr_dispatch_id 0
		.amdhsa_user_sgpr_flat_scratch_init 0
		.amdhsa_user_sgpr_private_segment_size 0
		.amdhsa_wavefront_size32 1
		.amdhsa_uses_dynamic_stack 0
		.amdhsa_system_sgpr_private_segment_wavefront_offset 1
		.amdhsa_system_sgpr_workgroup_id_x 1
		.amdhsa_system_sgpr_workgroup_id_y 0
		.amdhsa_system_sgpr_workgroup_id_z 0
		.amdhsa_system_sgpr_workgroup_info 0
		.amdhsa_system_vgpr_workitem_id 0
		.amdhsa_next_free_vgpr 256
		.amdhsa_next_free_sgpr 40
		.amdhsa_reserve_vcc 1
		.amdhsa_reserve_flat_scratch 0
		.amdhsa_float_round_mode_32 0
		.amdhsa_float_round_mode_16_64 0
		.amdhsa_float_denorm_mode_32 3
		.amdhsa_float_denorm_mode_16_64 3
		.amdhsa_dx10_clamp 1
		.amdhsa_ieee_mode 1
		.amdhsa_fp16_overflow 0
		.amdhsa_workgroup_processor_mode 1
		.amdhsa_memory_ordered 1
		.amdhsa_forward_progress 0
		.amdhsa_shared_vgpr_count 0
		.amdhsa_exception_fp_ieee_invalid_op 0
		.amdhsa_exception_fp_denorm_src 0
		.amdhsa_exception_fp_ieee_div_zero 0
		.amdhsa_exception_fp_ieee_overflow 0
		.amdhsa_exception_fp_ieee_underflow 0
		.amdhsa_exception_fp_ieee_inexact 0
		.amdhsa_exception_int_div_zero 0
	.end_amdhsa_kernel
	.text
.Lfunc_end0:
	.size	bluestein_single_back_len630_dim1_dp_op_CI_CI, .Lfunc_end0-bluestein_single_back_len630_dim1_dp_op_CI_CI
                                        ; -- End function
	.section	.AMDGPU.csdata,"",@progbits
; Kernel info:
; codeLenInByte = 16168
; NumSgprs: 42
; NumVgprs: 256
; ScratchSize: 12
; MemoryBound: 0
; FloatMode: 240
; IeeeMode: 1
; LDSByteSize: 10080 bytes/workgroup (compile time only)
; SGPRBlocks: 5
; VGPRBlocks: 31
; NumSGPRsForWavesPerEU: 42
; NumVGPRsForWavesPerEU: 256
; Occupancy: 4
; WaveLimiterHint : 1
; COMPUTE_PGM_RSRC2:SCRATCH_EN: 1
; COMPUTE_PGM_RSRC2:USER_SGPR: 6
; COMPUTE_PGM_RSRC2:TRAP_HANDLER: 0
; COMPUTE_PGM_RSRC2:TGID_X_EN: 1
; COMPUTE_PGM_RSRC2:TGID_Y_EN: 0
; COMPUTE_PGM_RSRC2:TGID_Z_EN: 0
; COMPUTE_PGM_RSRC2:TIDIG_COMP_CNT: 0
	.text
	.p2alignl 6, 3214868480
	.fill 48, 4, 3214868480
	.type	__hip_cuid_f3d1a661ac476e29,@object ; @__hip_cuid_f3d1a661ac476e29
	.section	.bss,"aw",@nobits
	.globl	__hip_cuid_f3d1a661ac476e29
__hip_cuid_f3d1a661ac476e29:
	.byte	0                               ; 0x0
	.size	__hip_cuid_f3d1a661ac476e29, 1

	.ident	"AMD clang version 19.0.0git (https://github.com/RadeonOpenCompute/llvm-project roc-6.4.0 25133 c7fe45cf4b819c5991fe208aaa96edf142730f1d)"
	.section	".note.GNU-stack","",@progbits
	.addrsig
	.addrsig_sym __hip_cuid_f3d1a661ac476e29
	.amdgpu_metadata
---
amdhsa.kernels:
  - .args:
      - .actual_access:  read_only
        .address_space:  global
        .offset:         0
        .size:           8
        .value_kind:     global_buffer
      - .actual_access:  read_only
        .address_space:  global
        .offset:         8
        .size:           8
        .value_kind:     global_buffer
      - .actual_access:  read_only
        .address_space:  global
        .offset:         16
        .size:           8
        .value_kind:     global_buffer
      - .actual_access:  read_only
        .address_space:  global
        .offset:         24
        .size:           8
        .value_kind:     global_buffer
      - .actual_access:  read_only
        .address_space:  global
        .offset:         32
        .size:           8
        .value_kind:     global_buffer
      - .offset:         40
        .size:           8
        .value_kind:     by_value
      - .address_space:  global
        .offset:         48
        .size:           8
        .value_kind:     global_buffer
      - .address_space:  global
        .offset:         56
        .size:           8
        .value_kind:     global_buffer
      - .address_space:  global
        .offset:         64
        .size:           8
        .value_kind:     global_buffer
      - .address_space:  global
        .offset:         72
        .size:           8
        .value_kind:     global_buffer
      - .offset:         80
        .size:           4
        .value_kind:     by_value
      - .address_space:  global
        .offset:         88
        .size:           8
        .value_kind:     global_buffer
      - .address_space:  global
        .offset:         96
        .size:           8
        .value_kind:     global_buffer
    .group_segment_fixed_size: 10080
    .kernarg_segment_align: 8
    .kernarg_segment_size: 104
    .language:       OpenCL C
    .language_version:
      - 2
      - 0
    .max_flat_workgroup_size: 63
    .name:           bluestein_single_back_len630_dim1_dp_op_CI_CI
    .private_segment_fixed_size: 12
    .sgpr_count:     42
    .sgpr_spill_count: 0
    .symbol:         bluestein_single_back_len630_dim1_dp_op_CI_CI.kd
    .uniform_work_group_size: 1
    .uses_dynamic_stack: false
    .vgpr_count:     256
    .vgpr_spill_count: 2
    .wavefront_size: 32
    .workgroup_processor_mode: 1
amdhsa.target:   amdgcn-amd-amdhsa--gfx1030
amdhsa.version:
  - 1
  - 2
...

	.end_amdgpu_metadata
